;; amdgpu-corpus repo=ROCm/rocFFT kind=compiled arch=gfx906 opt=O3
	.text
	.amdgcn_target "amdgcn-amd-amdhsa--gfx906"
	.amdhsa_code_object_version 6
	.protected	bluestein_single_back_len2028_dim1_dp_op_CI_CI ; -- Begin function bluestein_single_back_len2028_dim1_dp_op_CI_CI
	.globl	bluestein_single_back_len2028_dim1_dp_op_CI_CI
	.p2align	8
	.type	bluestein_single_back_len2028_dim1_dp_op_CI_CI,@function
bluestein_single_back_len2028_dim1_dp_op_CI_CI: ; @bluestein_single_back_len2028_dim1_dp_op_CI_CI
; %bb.0:
	s_load_dwordx4 s[16:19], s[4:5], 0x28
	s_mov_b64 s[50:51], s[2:3]
	v_mul_u32_u24_e32 v1, 0x1a5, v0
	s_mov_b64 s[48:49], s[0:1]
	v_add_u32_sdwa v4, s6, v1 dst_sel:DWORD dst_unused:UNUSED_PAD src0_sel:DWORD src1_sel:WORD_1
	v_mov_b32_e32 v5, 0
	s_add_u32 s48, s48, s7
	s_waitcnt lgkmcnt(0)
	v_cmp_gt_u64_e32 vcc, s[16:17], v[4:5]
	s_addc_u32 s49, s49, 0
	s_and_saveexec_b64 s[0:1], vcc
	s_cbranch_execz .LBB0_18
; %bb.1:
	s_load_dwordx4 s[8:11], s[4:5], 0x18
	s_load_dwordx4 s[12:15], s[4:5], 0x0
	s_movk_i32 s6, 0x9c
	v_mul_lo_u16_sdwa v1, v1, s6 dst_sel:DWORD dst_unused:UNUSED_PAD src0_sel:WORD_1 src1_sel:DWORD
	v_sub_u16_e32 v44, v0, v1
	s_waitcnt lgkmcnt(0)
	s_load_dwordx4 s[0:3], s[8:9], 0x0
	v_mov_b32_e32 v5, v4
	buffer_store_dword v5, off, s[48:51], 0 ; 4-byte Folded Spill
	s_nop 0
	buffer_store_dword v6, off, s[48:51], 0 offset:4 ; 4-byte Folded Spill
	v_lshlrev_b32_e32 v38, 4, v44
	s_mov_b32 s30, 0x42a4c3d2
	s_waitcnt lgkmcnt(0)
	v_mad_u64_u32 v[0:1], s[6:7], s2, v4, 0
	v_mad_u64_u32 v[2:3], s[6:7], s0, v44, 0
	s_mul_hi_u32 s6, s0, 0x9c0
	s_mulk_i32 s0, 0x9c0
	v_mad_u64_u32 v[4:5], s[2:3], s3, v4, v[1:2]
	s_mov_b32 s36, 0x66966769
	s_mov_b32 s26, 0x24c2f84
	v_mad_u64_u32 v[5:6], s[2:3], s1, v44, v[3:4]
	v_mov_b32_e32 v1, v4
	v_lshlrev_b64 v[0:1], 4, v[0:1]
	v_mov_b32_e32 v6, s19
	v_mov_b32_e32 v3, v5
	v_add_co_u32_e32 v4, vcc, s18, v0
	v_addc_co_u32_e32 v5, vcc, v6, v1, vcc
	v_lshlrev_b64 v[0:1], 4, v[2:3]
	v_add_co_u32_e64 v255, s[2:3], s12, v38
	v_add_co_u32_e32 v8, vcc, v4, v0
	v_mov_b32_e32 v0, s13
	s_mulk_i32 s1, 0x9c0
	v_addc_co_u32_e32 v9, vcc, v5, v1, vcc
	v_addc_co_u32_e64 v39, vcc, 0, v0, s[2:3]
	s_add_i32 s1, s6, s1
	v_mov_b32_e32 v0, s1
	v_add_co_u32_e32 v10, vcc, s0, v8
	v_addc_co_u32_e32 v11, vcc, v9, v0, vcc
	global_load_dwordx4 v[0:3], v[8:9], off
	global_load_dwordx4 v[4:7], v[10:11], off
	global_load_dwordx4 v[72:75], v38, s[12:13]
	global_load_dwordx4 v[106:109], v38, s[12:13] offset:2496
	v_mov_b32_e32 v8, s1
	v_add_co_u32_e32 v12, vcc, s0, v10
	v_addc_co_u32_e32 v13, vcc, v11, v8, vcc
	s_movk_i32 s6, 0x1000
	v_add_co_u32_e32 v14, vcc, s6, v255
	v_addc_co_u32_e32 v15, vcc, 0, v39, vcc
	v_mov_b32_e32 v16, s1
	v_add_co_u32_e32 v20, vcc, s0, v12
	v_addc_co_u32_e32 v21, vcc, v13, v16, vcc
	global_load_dwordx4 v[8:11], v[12:13], off
	v_mov_b32_e32 v12, s1
	v_add_co_u32_e32 v22, vcc, s0, v20
	v_addc_co_u32_e32 v23, vcc, v21, v12, vcc
	s_movk_i32 s6, 0x2000
	global_load_dwordx4 v[110:113], v[14:15], off offset:896
	global_load_dwordx4 v[86:89], v[14:15], off offset:3392
	s_nop 0
	global_load_dwordx4 v[12:15], v[20:21], off
	global_load_dwordx4 v[16:19], v[22:23], off
	v_add_co_u32_e32 v20, vcc, s6, v255
	v_addc_co_u32_e32 v21, vcc, 0, v39, vcc
	global_load_dwordx4 v[90:93], v[20:21], off offset:1792
	v_mov_b32_e32 v20, s1
	v_add_co_u32_e32 v24, vcc, s0, v22
	v_addc_co_u32_e32 v25, vcc, v23, v20, vcc
	s_movk_i32 s6, 0x3000
	v_add_co_u32_e32 v28, vcc, s6, v255
	v_addc_co_u32_e32 v29, vcc, 0, v39, vcc
	v_mov_b32_e32 v26, s1
	v_add_co_u32_e32 v30, vcc, s0, v24
	v_addc_co_u32_e32 v31, vcc, v25, v26, vcc
	global_load_dwordx4 v[20:23], v[24:25], off
	s_nop 0
	global_load_dwordx4 v[24:27], v[30:31], off
	global_load_dwordx4 v[114:117], v[28:29], off offset:192
	global_load_dwordx4 v[94:97], v[28:29], off offset:2688
	v_mov_b32_e32 v28, s1
	v_add_co_u32_e32 v32, vcc, s0, v30
	v_addc_co_u32_e32 v33, vcc, v31, v28, vcc
	s_movk_i32 s6, 0x4000
	v_add_co_u32_e32 v36, vcc, s6, v255
	v_addc_co_u32_e32 v37, vcc, 0, v39, vcc
	v_mov_b32_e32 v34, s1
	v_add_co_u32_e32 v48, vcc, s0, v32
	v_addc_co_u32_e32 v49, vcc, v33, v34, vcc
	global_load_dwordx4 v[28:31], v[32:33], off
	s_nop 0
	global_load_dwordx4 v[32:35], v[48:49], off
	global_load_dwordx4 v[118:121], v[36:37], off offset:1088
	global_load_dwordx4 v[98:101], v[36:37], off offset:3584
	v_mov_b32_e32 v37, s1
	v_add_co_u32_e32 v36, vcc, s0, v48
	v_addc_co_u32_e32 v37, vcc, v49, v37, vcc
	s_movk_i32 s6, 0x5000
	v_add_co_u32_e32 v48, vcc, s6, v255
	v_addc_co_u32_e32 v49, vcc, 0, v39, vcc
	global_load_dwordx4 v[52:55], v[36:37], off
	v_mov_b32_e32 v40, s1
	v_add_co_u32_e32 v36, vcc, s0, v36
	v_addc_co_u32_e32 v37, vcc, v37, v40, vcc
	s_movk_i32 s6, 0x6000
	v_add_co_u32_e32 v64, vcc, s6, v255
	v_addc_co_u32_e32 v65, vcc, 0, v39, vcc
	global_load_dwordx4 v[56:59], v[36:37], off
	v_add_co_u32_e32 v36, vcc, s0, v36
	v_addc_co_u32_e32 v37, vcc, v37, v40, vcc
	global_load_dwordx4 v[102:105], v[48:49], off offset:1984
	global_load_dwordx4 v[60:63], v[36:37], off
	s_nop 0
	global_load_dwordx4 v[48:51], v[64:65], off offset:384
	global_load_dwordx4 v[82:85], v[64:65], off offset:2880
	v_add_co_u32_e32 v36, vcc, s0, v36
	v_addc_co_u32_e32 v37, vcc, v37, v40, vcc
	s_movk_i32 s0, 0x7000
	global_load_dwordx4 v[64:67], v[36:37], off
	v_add_co_u32_e32 v36, vcc, s0, v255
	v_addc_co_u32_e32 v37, vcc, 0, v39, vcc
	global_load_dwordx4 v[39:42], v[36:37], off offset:1280
	s_waitcnt vmcnt(23)
	v_mul_f64 v[36:37], v[2:3], v[74:75]
	v_mul_f64 v[68:69], v[0:1], v[74:75]
	s_waitcnt vmcnt(22)
	v_mul_f64 v[70:71], v[6:7], v[108:109]
	s_waitcnt vmcnt(18)
	v_mul_f64 v[76:77], v[12:13], v[88:89]
	s_mov_b32 s18, 0x2ef20147
	s_mov_b32 s38, 0x4bc48dbf
	s_waitcnt vmcnt(16)
	v_mul_f64 v[78:79], v[18:19], v[92:93]
	v_mul_f64 v[80:81], v[16:17], v[92:93]
	v_fma_f64 v[0:1], v[0:1], v[72:73], v[36:37]
	buffer_store_dword v72, off, s[48:51], 0 offset:156 ; 4-byte Folded Spill
	s_nop 0
	buffer_store_dword v73, off, s[48:51], 0 offset:160 ; 4-byte Folded Spill
	buffer_store_dword v74, off, s[48:51], 0 offset:164 ; 4-byte Folded Spill
	;; [unrolled: 1-line block ×3, first 2 shown]
	v_mul_f64 v[74:75], v[14:15], v[88:89]
	v_mul_f64 v[36:37], v[4:5], v[108:109]
	v_fma_f64 v[4:5], v[4:5], v[106:107], v[70:71]
	buffer_store_dword v106, off, s[48:51], 0 offset:108 ; 4-byte Folded Spill
	s_nop 0
	buffer_store_dword v107, off, s[48:51], 0 offset:112 ; 4-byte Folded Spill
	buffer_store_dword v108, off, s[48:51], 0 offset:116 ; 4-byte Folded Spill
	;; [unrolled: 1-line block ×3, first 2 shown]
	v_fma_f64 v[16:17], v[16:17], v[90:91], v[78:79]
	s_mov_b32 s23, 0xbfddbe06
	s_mov_b32 s22, 0x4267c47c
	;; [unrolled: 1-line block ×3, first 2 shown]
	v_fma_f64 v[12:13], v[12:13], v[86:87], v[74:75]
	s_mov_b32 s37, 0xbfefc445
	s_mov_b32 s19, 0xbfedeba7
	;; [unrolled: 1-line block ×22, first 2 shown]
                                        ; implicit-def: $vgpr160_vgpr161
                                        ; implicit-def: $vgpr156_vgpr157
	v_fma_f64 v[2:3], v[2:3], v[72:73], -v[68:69]
	v_mul_f64 v[68:69], v[10:11], v[112:113]
	v_mul_f64 v[72:73], v[8:9], v[112:113]
	v_fma_f64 v[6:7], v[6:7], v[106:107], -v[36:37]
	v_fma_f64 v[8:9], v[8:9], v[110:111], v[68:69]
	buffer_store_dword v110, off, s[48:51], 0 offset:124 ; 4-byte Folded Spill
	s_nop 0
	buffer_store_dword v111, off, s[48:51], 0 offset:128 ; 4-byte Folded Spill
	buffer_store_dword v112, off, s[48:51], 0 offset:132 ; 4-byte Folded Spill
	buffer_store_dword v113, off, s[48:51], 0 offset:136 ; 4-byte Folded Spill
	buffer_store_dword v86, off, s[48:51], 0 offset:28 ; 4-byte Folded Spill
	s_nop 0
	buffer_store_dword v87, off, s[48:51], 0 offset:32 ; 4-byte Folded Spill
	buffer_store_dword v88, off, s[48:51], 0 offset:36 ; 4-byte Folded Spill
	buffer_store_dword v89, off, s[48:51], 0 offset:40 ; 4-byte Folded Spill
	;; [unrolled: 5-line block ×3, first 2 shown]
	s_load_dwordx4 s[8:11], s[10:11], 0x0
	v_fma_f64 v[10:11], v[10:11], v[110:111], -v[72:73]
	v_fma_f64 v[14:15], v[14:15], v[86:87], -v[76:77]
	;; [unrolled: 1-line block ×3, first 2 shown]
	ds_write_b128 v38, v[0:3]
	ds_write_b128 v38, v[4:7] offset:2496
	ds_write_b128 v38, v[8:11] offset:4992
	;; [unrolled: 1-line block ×4, first 2 shown]
	s_waitcnt vmcnt(33)
	v_mul_f64 v[0:1], v[22:23], v[116:117]
	s_waitcnt vmcnt(32)
	v_mul_f64 v[4:5], v[26:27], v[96:97]
	;; [unrolled: 2-line block ×3, first 2 shown]
	v_mul_f64 v[2:3], v[20:21], v[116:117]
	v_mul_f64 v[6:7], v[24:25], v[96:97]
	;; [unrolled: 1-line block ×3, first 2 shown]
	s_waitcnt vmcnt(28)
	v_mul_f64 v[12:13], v[34:35], v[100:101]
	s_waitcnt vmcnt(25)
	v_mul_f64 v[16:17], v[54:55], v[104:105]
	v_fma_f64 v[0:1], v[20:21], v[114:115], v[0:1]
	buffer_store_dword v114, off, s[48:51], 0 offset:172 ; 4-byte Folded Spill
	s_nop 0
	buffer_store_dword v115, off, s[48:51], 0 offset:176 ; 4-byte Folded Spill
	buffer_store_dword v116, off, s[48:51], 0 offset:180 ; 4-byte Folded Spill
	buffer_store_dword v117, off, s[48:51], 0 offset:184 ; 4-byte Folded Spill
	v_fma_f64 v[4:5], v[24:25], v[94:95], v[4:5]
	buffer_store_dword v94, off, s[48:51], 0 offset:60 ; 4-byte Folded Spill
	s_nop 0
	buffer_store_dword v95, off, s[48:51], 0 offset:64 ; 4-byte Folded Spill
	buffer_store_dword v96, off, s[48:51], 0 offset:68 ; 4-byte Folded Spill
	buffer_store_dword v97, off, s[48:51], 0 offset:72 ; 4-byte Folded Spill
	;; [unrolled: 6-line block ×3, first 2 shown]
	s_waitcnt vmcnt(34)
	v_mul_f64 v[24:25], v[62:63], v[84:85]
	s_waitcnt vmcnt(32)
	v_mul_f64 v[28:29], v[66:67], v[41:42]
	v_mul_f64 v[14:15], v[32:33], v[100:101]
	v_fma_f64 v[12:13], v[32:33], v[98:99], v[12:13]
	buffer_store_dword v98, off, s[48:51], 0 offset:76 ; 4-byte Folded Spill
	s_nop 0
	buffer_store_dword v99, off, s[48:51], 0 offset:80 ; 4-byte Folded Spill
	buffer_store_dword v100, off, s[48:51], 0 offset:84 ; 4-byte Folded Spill
	;; [unrolled: 1-line block ×3, first 2 shown]
	v_mul_f64 v[18:19], v[52:53], v[104:105]
	v_fma_f64 v[16:17], v[52:53], v[102:103], v[16:17]
	buffer_store_dword v102, off, s[48:51], 0 offset:92 ; 4-byte Folded Spill
	s_nop 0
	buffer_store_dword v103, off, s[48:51], 0 offset:96 ; 4-byte Folded Spill
	buffer_store_dword v104, off, s[48:51], 0 offset:100 ; 4-byte Folded Spill
	;; [unrolled: 1-line block ×3, first 2 shown]
	v_fma_f64 v[24:25], v[60:61], v[82:83], v[24:25]
	v_fma_f64 v[28:29], v[64:65], v[39:40], v[28:29]
	v_mul_f64 v[20:21], v[58:59], v[50:51]
	v_fma_f64 v[20:21], v[56:57], v[48:49], v[20:21]
	v_fma_f64 v[2:3], v[22:23], v[114:115], -v[2:3]
	v_mul_f64 v[22:23], v[56:57], v[50:51]
	v_fma_f64 v[6:7], v[26:27], v[94:95], -v[6:7]
	v_mul_f64 v[26:27], v[60:61], v[84:85]
	buffer_store_dword v82, off, s[48:51], 0 offset:12 ; 4-byte Folded Spill
	s_nop 0
	buffer_store_dword v83, off, s[48:51], 0 offset:16 ; 4-byte Folded Spill
	buffer_store_dword v84, off, s[48:51], 0 offset:20 ; 4-byte Folded Spill
	buffer_store_dword v85, off, s[48:51], 0 offset:24 ; 4-byte Folded Spill
	v_fma_f64 v[10:11], v[30:31], v[118:119], -v[10:11]
	v_mul_f64 v[30:31], v[64:65], v[41:42]
	buffer_store_dword v39, off, s[48:51], 0 offset:140 ; 4-byte Folded Spill
	s_nop 0
	buffer_store_dword v40, off, s[48:51], 0 offset:144 ; 4-byte Folded Spill
	buffer_store_dword v41, off, s[48:51], 0 offset:148 ; 4-byte Folded Spill
	;; [unrolled: 1-line block ×3, first 2 shown]
	v_fma_f64 v[14:15], v[34:35], v[98:99], -v[14:15]
	v_fma_f64 v[22:23], v[58:59], v[48:49], -v[22:23]
	;; [unrolled: 1-line block ×5, first 2 shown]
	ds_write_b128 v38, v[0:3] offset:12480
	ds_write_b128 v38, v[4:7] offset:14976
	;; [unrolled: 1-line block ×8, first 2 shown]
	s_waitcnt vmcnt(0) lgkmcnt(0)
	s_barrier
	ds_read_b128 v[56:59], v38
	ds_read_b128 v[0:3], v38 offset:2496
	ds_read_b128 v[4:7], v38 offset:4992
	;; [unrolled: 1-line block ×3, first 2 shown]
	s_waitcnt lgkmcnt(2)
	v_add_f64 v[12:13], v[56:57], v[0:1]
	v_add_f64 v[14:15], v[58:59], v[2:3]
	s_waitcnt lgkmcnt(1)
	v_add_f64 v[12:13], v[12:13], v[4:5]
	v_add_f64 v[14:15], v[14:15], v[6:7]
	;; [unrolled: 3-line block ×3, first 2 shown]
	ds_read_b128 v[12:15], v38 offset:9984
	ds_read_b128 v[16:19], v38 offset:12480
	s_waitcnt lgkmcnt(1)
	v_add_f64 v[20:21], v[20:21], v[12:13]
	v_add_f64 v[22:23], v[22:23], v[14:15]
	s_waitcnt lgkmcnt(0)
	v_add_f64 v[28:29], v[20:21], v[16:17]
	v_add_f64 v[30:31], v[22:23], v[18:19]
	ds_read_b128 v[20:23], v38 offset:14976
	ds_read_b128 v[24:27], v38 offset:17472
	s_waitcnt lgkmcnt(0)
	v_add_f64 v[96:97], v[20:21], v[24:25]
	v_add_f64 v[28:29], v[28:29], v[20:21]
	;; [unrolled: 1-line block ×6, first 2 shown]
	ds_read_b128 v[28:31], v38 offset:19968
	ds_read_b128 v[32:35], v38 offset:22464
	ds_read_b128 v[60:63], v38 offset:24960
	ds_read_b128 v[68:71], v38 offset:27456
	ds_read_b128 v[64:67], v38 offset:29952
	s_waitcnt lgkmcnt(0)
	v_add_f64 v[88:89], v[16:17], v[28:29]
	v_add_f64 v[74:75], v[10:11], v[62:63]
	;; [unrolled: 1-line block ×4, first 2 shown]
	v_add_f64 v[100:101], v[2:3], -v[66:67]
	v_add_f64 v[102:103], v[2:3], v[66:67]
	v_add_f64 v[104:105], v[0:1], -v[64:65]
	v_add_f64 v[78:79], v[10:11], -v[62:63]
	v_add_f64 v[90:91], v[18:19], v[30:31]
	v_add_f64 v[92:93], v[16:17], -v[28:29]
	v_add_f64 v[36:37], v[36:37], v[32:33]
	v_add_f64 v[52:53], v[52:53], v[34:35]
	v_add_f64 v[94:95], v[18:19], -v[30:31]
	v_mul_f64 v[10:11], v[100:101], s[36:37]
	v_mul_f64 v[16:17], v[100:101], s[18:19]
	;; [unrolled: 1-line block ×3, first 2 shown]
	v_add_f64 v[72:73], v[8:9], v[60:61]
	v_add_f64 v[76:77], v[8:9], -v[60:61]
	v_add_f64 v[36:37], v[36:37], v[60:61]
	v_add_f64 v[52:53], v[52:53], v[62:63]
	;; [unrolled: 1-line block ×4, first 2 shown]
	v_add_f64 v[84:85], v[12:13], -v[32:33]
	v_add_f64 v[86:87], v[14:15], -v[34:35]
	;; [unrolled: 1-line block ×3, first 2 shown]
	v_mul_f64 v[26:27], v[104:105], s[22:23]
	v_add_f64 v[36:37], v[36:37], v[68:69]
	v_add_f64 v[54:55], v[52:53], v[70:71]
	v_mul_f64 v[30:31], v[104:105], s[30:31]
	v_mul_f64 v[32:33], v[104:105], s[36:37]
	v_mul_f64 v[60:61], v[104:105], s[26:27]
	v_mul_f64 v[62:63], v[104:105], s[38:39]
	v_mul_f64 v[116:117], v[78:79], s[36:37]
	v_fma_f64 v[34:35], v[102:103], s[16:17], v[26:27]
	v_add_f64 v[52:53], v[36:37], v[64:65]
	v_add_f64 v[54:55], v[54:55], v[66:67]
	;; [unrolled: 1-line block ×5, first 2 shown]
	v_add_f64 v[68:69], v[4:5], -v[68:69]
	v_add_f64 v[70:71], v[6:7], -v[70:71]
	v_mul_f64 v[4:5], v[100:101], s[22:23]
	v_add_f64 v[0:1], v[20:21], -v[24:25]
	v_mul_f64 v[6:7], v[100:101], s[30:31]
	v_mul_f64 v[20:21], v[100:101], s[38:39]
	v_fma_f64 v[14:15], v[36:37], s[0:1], -v[10:11]
	v_fma_f64 v[10:11], v[36:37], s[0:1], v[10:11]
	v_fma_f64 v[22:23], v[36:37], s[6:7], -v[16:17]
	v_fma_f64 v[16:17], v[36:37], s[6:7], v[16:17]
	;; [unrolled: 2-line block ×6, first 2 shown]
	v_mul_f64 v[36:37], v[104:105], s[18:19]
	v_mul_f64 v[110:111], v[70:71], s[30:31]
	v_fma_f64 v[26:27], v[102:103], s[16:17], -v[26:27]
	v_fma_f64 v[100:101], v[102:103], s[20:21], v[30:31]
	v_fma_f64 v[30:31], v[102:103], s[20:21], -v[30:31]
	v_fma_f64 v[104:105], v[102:103], s[0:1], v[32:33]
	;; [unrolled: 2-line block ×3, first 2 shown]
	v_fma_f64 v[106:107], v[102:103], s[6:7], v[36:37]
	v_fma_f64 v[36:37], v[102:103], s[6:7], -v[36:37]
	v_fma_f64 v[60:61], v[102:103], s[24:25], -v[60:61]
	v_fma_f64 v[112:113], v[102:103], s[28:29], v[62:63]
	v_fma_f64 v[62:63], v[102:103], s[28:29], -v[62:63]
	v_add_f64 v[8:9], v[56:57], v[8:9]
	v_add_f64 v[102:103], v[56:57], v[4:5]
	v_fma_f64 v[4:5], v[64:65], s[20:21], -v[110:111]
	v_mul_f64 v[114:115], v[68:69], s[30:31]
	v_add_f64 v[34:35], v[58:59], v[34:35]
	v_add_f64 v[118:119], v[56:57], v[6:7]
	v_mul_f64 v[120:121], v[76:77], s[36:37]
	v_mul_f64 v[122:123], v[86:87], s[18:19]
	v_add_f64 v[124:125], v[56:57], v[10:11]
	v_mul_f64 v[126:127], v[94:95], s[26:27]
	v_add_f64 v[4:5], v[4:5], v[8:9]
	v_fma_f64 v[6:7], v[66:67], s[20:21], v[114:115]
	v_fma_f64 v[8:9], v[72:73], s[0:1], -v[116:117]
	v_add_f64 v[128:129], v[56:57], v[16:17]
	v_add_f64 v[130:131], v[56:57], v[24:25]
	v_fma_f64 v[10:11], v[80:81], s[6:7], -v[122:123]
	v_mul_f64 v[132:133], v[92:93], s[26:27]
	v_fma_f64 v[24:25], v[88:89], s[24:25], -v[126:127]
	v_mul_f64 v[134:135], v[2:3], s[38:39]
	v_add_f64 v[6:7], v[6:7], v[34:35]
	v_add_f64 v[4:5], v[8:9], v[4:5]
	v_fma_f64 v[8:9], v[74:75], s[0:1], v[120:121]
	v_mul_f64 v[34:35], v[84:85], s[18:19]
	v_add_f64 v[26:27], v[58:59], v[26:27]
	v_add_f64 v[12:13], v[56:57], v[12:13]
	;; [unrolled: 1-line block ×7, first 2 shown]
	v_fma_f64 v[16:17], v[82:83], s[6:7], v[34:35]
	v_add_f64 v[4:5], v[56:57], v[28:29]
	v_add_f64 v[6:7], v[58:59], v[112:113]
	v_fma_f64 v[18:19], v[96:97], s[28:29], -v[134:135]
	v_add_f64 v[112:113], v[56:57], v[20:21]
	v_fma_f64 v[28:29], v[64:65], s[20:21], v[110:111]
	v_add_f64 v[10:11], v[24:25], v[10:11]
	v_mul_f64 v[24:25], v[70:71], s[18:19]
	v_add_f64 v[8:9], v[16:17], v[8:9]
	v_fma_f64 v[16:17], v[90:91], s[24:25], v[132:133]
	v_fma_f64 v[56:57], v[66:67], s[20:21], -v[114:115]
	v_add_f64 v[138:139], v[58:59], v[60:61]
	v_add_f64 v[140:141], v[58:59], v[62:63]
	;; [unrolled: 1-line block ×4, first 2 shown]
	v_fma_f64 v[10:11], v[64:65], s[6:7], -v[24:25]
	v_mul_f64 v[18:19], v[78:79], s[38:39]
	v_add_f64 v[8:9], v[16:17], v[8:9]
	v_mul_f64 v[16:17], v[68:69], s[18:19]
	v_add_f64 v[26:27], v[56:57], v[26:27]
	v_fma_f64 v[56:57], v[72:73], s[0:1], v[116:117]
	v_fma_f64 v[62:63], v[74:75], s[0:1], -v[120:121]
	v_add_f64 v[100:101], v[58:59], v[100:101]
	v_add_f64 v[10:11], v[10:11], v[12:13]
	v_fma_f64 v[102:103], v[72:73], s[28:29], -v[18:19]
	v_mul_f64 v[110:111], v[76:77], s[38:39]
	v_fma_f64 v[12:13], v[66:67], s[6:7], v[16:17]
	v_mul_f64 v[114:115], v[86:87], s[40:41]
	v_add_f64 v[28:29], v[56:57], v[28:29]
	v_add_f64 v[26:27], v[62:63], v[26:27]
	v_fma_f64 v[56:57], v[80:81], s[6:7], v[122:123]
	v_fma_f64 v[34:35], v[82:83], s[6:7], -v[34:35]
	v_mul_f64 v[20:21], v[0:1], s[38:39]
	v_add_f64 v[10:11], v[102:103], v[10:11]
	v_add_f64 v[12:13], v[12:13], v[100:101]
	v_fma_f64 v[62:63], v[74:75], s[28:29], v[110:111]
	v_fma_f64 v[100:101], v[80:81], s[24:25], -v[114:115]
	v_mul_f64 v[102:103], v[84:85], s[40:41]
	v_mul_f64 v[116:117], v[94:95], s[34:35]
	v_add_f64 v[28:29], v[56:57], v[28:29]
	v_add_f64 v[26:27], v[34:35], v[26:27]
	v_fma_f64 v[56:57], v[90:91], s[24:25], -v[132:133]
	s_mov_b32 s23, 0x3fddbe06
	v_add_f64 v[30:31], v[58:59], v[30:31]
	v_add_f64 v[104:105], v[58:59], v[104:105]
	v_add_f64 v[32:33], v[58:59], v[32:33]
	v_add_f64 v[106:107], v[58:59], v[106:107]
	v_add_f64 v[36:37], v[58:59], v[36:37]
	v_add_f64 v[108:109], v[58:59], v[108:109]
	v_fma_f64 v[58:59], v[98:99], s[28:29], v[20:21]
	v_fma_f64 v[34:35], v[88:89], s[24:25], v[126:127]
	v_add_f64 v[12:13], v[62:63], v[12:13]
	v_add_f64 v[10:11], v[100:101], v[10:11]
	v_fma_f64 v[62:63], v[82:83], s[24:25], v[102:103]
	v_fma_f64 v[100:101], v[88:89], s[0:1], -v[116:117]
	v_mul_f64 v[122:123], v[2:3], s[22:23]
	v_add_f64 v[26:27], v[56:57], v[26:27]
	v_fma_f64 v[20:21], v[98:99], s[28:29], -v[20:21]
	v_add_f64 v[28:29], v[34:35], v[28:29]
	v_fma_f64 v[34:35], v[96:97], s[28:29], v[134:135]
	v_fma_f64 v[24:25], v[64:65], s[6:7], v[24:25]
	v_add_f64 v[12:13], v[62:63], v[12:13]
	v_add_f64 v[10:11], v[100:101], v[10:11]
	v_fma_f64 v[126:127], v[96:97], s[16:17], -v[122:123]
	v_fma_f64 v[16:17], v[66:67], s[6:7], -v[16:17]
	v_add_f64 v[62:63], v[58:59], v[8:9]
	v_add_f64 v[58:59], v[20:21], v[26:27]
	v_mul_f64 v[20:21], v[70:71], s[38:39]
	v_mul_f64 v[120:121], v[92:93], s[34:35]
	v_add_f64 v[56:57], v[34:35], v[28:29]
	v_fma_f64 v[18:19], v[72:73], s[28:29], v[18:19]
	v_add_f64 v[8:9], v[126:127], v[10:11]
	v_add_f64 v[10:11], v[24:25], v[118:119]
	;; [unrolled: 1-line block ×3, first 2 shown]
	v_fma_f64 v[24:25], v[74:75], s[28:29], -v[110:111]
	v_fma_f64 v[28:29], v[64:65], s[28:29], -v[20:21]
	v_mul_f64 v[30:31], v[68:69], s[38:39]
	v_mul_f64 v[34:35], v[78:79], s[42:43]
	v_fma_f64 v[100:101], v[90:91], s[0:1], v[120:121]
	v_mul_f64 v[26:27], v[0:1], s[22:23]
	v_add_f64 v[10:11], v[18:19], v[10:11]
	v_fma_f64 v[18:19], v[80:81], s[24:25], v[114:115]
	v_add_f64 v[16:17], v[24:25], v[16:17]
	v_fma_f64 v[24:25], v[82:83], s[24:25], -v[102:103]
	v_add_f64 v[14:15], v[28:29], v[14:15]
	v_fma_f64 v[28:29], v[66:67], s[28:29], v[30:31]
	v_fma_f64 v[102:103], v[72:73], s[6:7], -v[34:35]
	v_mul_f64 v[110:111], v[76:77], s[42:43]
	v_mul_f64 v[114:115], v[86:87], s[22:23]
	v_add_f64 v[12:13], v[100:101], v[12:13]
	v_fma_f64 v[100:101], v[98:99], s[16:17], v[26:27]
	v_add_f64 v[18:19], v[18:19], v[10:11]
	v_add_f64 v[16:17], v[24:25], v[16:17]
	v_fma_f64 v[24:25], v[88:89], s[0:1], v[116:117]
	v_fma_f64 v[116:117], v[90:91], s[0:1], -v[120:121]
	v_add_f64 v[28:29], v[28:29], v[104:105]
	v_add_f64 v[14:15], v[102:103], v[14:15]
	v_fma_f64 v[102:103], v[74:75], s[6:7], v[110:111]
	v_fma_f64 v[104:105], v[80:81], s[16:17], -v[114:115]
	v_mul_f64 v[118:119], v[84:85], s[22:23]
	v_mul_f64 v[120:121], v[94:95], s[30:31]
	v_add_f64 v[10:11], v[100:101], v[12:13]
	v_add_f64 v[12:13], v[24:25], v[18:19]
	;; [unrolled: 1-line block ×3, first 2 shown]
	v_fma_f64 v[18:19], v[96:97], s[16:17], v[122:123]
	v_add_f64 v[24:25], v[102:103], v[28:29]
	v_add_f64 v[14:15], v[104:105], v[14:15]
	v_fma_f64 v[28:29], v[82:83], s[16:17], v[118:119]
	v_fma_f64 v[100:101], v[88:89], s[20:21], -v[120:121]
	v_mul_f64 v[102:103], v[92:93], s[30:31]
	v_mul_f64 v[104:105], v[2:3], s[26:27]
	v_fma_f64 v[26:27], v[98:99], s[16:17], -v[26:27]
	v_add_f64 v[12:13], v[18:19], v[12:13]
	v_fma_f64 v[18:19], v[64:65], s[28:29], v[20:21]
	v_fma_f64 v[20:21], v[66:67], s[28:29], -v[30:31]
	v_add_f64 v[24:25], v[28:29], v[24:25]
	v_add_f64 v[28:29], v[100:101], v[14:15]
	v_fma_f64 v[30:31], v[90:91], s[20:21], v[102:103]
	v_fma_f64 v[100:101], v[96:97], s[24:25], -v[104:105]
	v_add_f64 v[14:15], v[26:27], v[16:17]
	v_mul_f64 v[26:27], v[70:71], s[40:41]
	v_add_f64 v[18:19], v[18:19], v[124:125]
	v_add_f64 v[20:21], v[20:21], v[32:33]
	v_fma_f64 v[32:33], v[72:73], s[6:7], v[34:35]
	v_fma_f64 v[34:35], v[74:75], s[6:7], -v[110:111]
	v_add_f64 v[24:25], v[30:31], v[24:25]
	v_add_f64 v[16:17], v[100:101], v[28:29]
	v_mul_f64 v[100:101], v[68:69], s[40:41]
	v_fma_f64 v[30:31], v[64:65], s[24:25], -v[26:27]
	v_mul_f64 v[110:111], v[78:79], s[22:23]
	v_mul_f64 v[28:29], v[0:1], s[26:27]
	v_add_f64 v[18:19], v[32:33], v[18:19]
	v_add_f64 v[20:21], v[34:35], v[20:21]
	v_fma_f64 v[32:33], v[80:81], s[16:17], v[114:115]
	v_fma_f64 v[34:35], v[82:83], s[16:17], -v[118:119]
	v_mul_f64 v[118:119], v[76:77], s[22:23]
	v_add_f64 v[22:23], v[30:31], v[22:23]
	v_fma_f64 v[30:31], v[66:67], s[24:25], v[100:101]
	v_fma_f64 v[116:117], v[72:73], s[16:17], -v[110:111]
	v_mul_f64 v[122:123], v[86:87], s[36:37]
	s_mov_b32 s39, 0x3fcea1e5
	v_fma_f64 v[114:115], v[98:99], s[24:25], v[28:29]
	v_add_f64 v[32:33], v[32:33], v[18:19]
	v_add_f64 v[20:21], v[34:35], v[20:21]
	v_fma_f64 v[34:35], v[88:89], s[20:21], v[120:121]
	v_fma_f64 v[102:103], v[90:91], s[20:21], -v[102:103]
	v_add_f64 v[30:31], v[30:31], v[106:107]
	v_add_f64 v[22:23], v[116:117], v[22:23]
	v_fma_f64 v[106:107], v[74:75], s[16:17], v[118:119]
	v_fma_f64 v[116:117], v[80:81], s[0:1], -v[122:123]
	v_mul_f64 v[120:121], v[84:85], s[36:37]
	v_mul_f64 v[124:125], v[94:95], s[38:39]
	s_mov_b32 s37, 0x3fea55e2
	s_mov_b32 s36, s30
	v_add_f64 v[18:19], v[114:115], v[24:25]
	v_add_f64 v[24:25], v[34:35], v[32:33]
	;; [unrolled: 1-line block ×3, first 2 shown]
	v_fma_f64 v[20:21], v[96:97], s[24:25], v[104:105]
	v_add_f64 v[30:31], v[106:107], v[30:31]
	v_add_f64 v[22:23], v[116:117], v[22:23]
	v_fma_f64 v[34:35], v[82:83], s[0:1], v[120:121]
	v_fma_f64 v[102:103], v[88:89], s[28:29], -v[124:125]
	v_mul_f64 v[106:107], v[2:3], s[36:37]
	v_mul_f64 v[104:105], v[92:93], s[38:39]
	v_fma_f64 v[28:29], v[98:99], s[24:25], -v[28:29]
	v_add_f64 v[20:21], v[20:21], v[24:25]
	v_fma_f64 v[24:25], v[64:65], s[24:25], v[26:27]
	v_fma_f64 v[26:27], v[66:67], s[24:25], -v[100:101]
	v_add_f64 v[30:31], v[34:35], v[30:31]
	v_add_f64 v[34:35], v[102:103], v[22:23]
	v_fma_f64 v[102:103], v[96:97], s[20:21], -v[106:107]
	v_fma_f64 v[100:101], v[90:91], s[28:29], v[104:105]
	v_add_f64 v[22:23], v[28:29], v[32:33]
	v_mul_f64 v[28:29], v[70:71], s[34:35]
	v_add_f64 v[32:33], v[24:25], v[128:129]
	v_add_f64 v[26:27], v[26:27], v[36:37]
	v_fma_f64 v[36:37], v[72:73], s[16:17], v[110:111]
	v_fma_f64 v[110:111], v[74:75], s[16:17], -v[118:119]
	v_add_f64 v[24:25], v[102:103], v[34:35]
	v_mul_f64 v[102:103], v[68:69], s[34:35]
	v_add_f64 v[30:31], v[100:101], v[30:31]
	v_mul_f64 v[34:35], v[0:1], s[36:37]
	v_fma_f64 v[100:101], v[64:65], s[0:1], -v[28:29]
	v_mul_f64 v[114:115], v[78:79], s[30:31]
	v_add_f64 v[32:33], v[36:37], v[32:33]
	v_add_f64 v[26:27], v[110:111], v[26:27]
	v_fma_f64 v[36:37], v[80:81], s[0:1], v[122:123]
	v_fma_f64 v[110:111], v[82:83], s[0:1], -v[120:121]
	v_fma_f64 v[118:119], v[66:67], s[0:1], v[102:103]
	v_mul_f64 v[122:123], v[76:77], s[30:31]
	v_fma_f64 v[116:117], v[98:99], s[20:21], v[34:35]
	v_add_f64 v[100:101], v[100:101], v[130:131]
	v_fma_f64 v[120:121], v[72:73], s[20:21], -v[114:115]
	v_mul_f64 v[126:127], v[86:87], s[38:39]
	v_add_f64 v[32:33], v[36:37], v[32:33]
	v_add_f64 v[36:37], v[110:111], v[26:27]
	v_fma_f64 v[110:111], v[88:89], s[28:29], v[124:125]
	v_fma_f64 v[104:105], v[90:91], s[28:29], -v[104:105]
	v_add_f64 v[108:109], v[118:119], v[108:109]
	v_fma_f64 v[118:119], v[74:75], s[20:21], v[122:123]
	v_mul_f64 v[124:125], v[84:85], s[38:39]
	v_add_f64 v[100:101], v[120:121], v[100:101]
	v_fma_f64 v[120:121], v[80:81], s[28:29], -v[126:127]
	v_mul_f64 v[128:129], v[94:95], s[22:23]
	v_add_f64 v[26:27], v[116:117], v[30:31]
	v_add_f64 v[30:31], v[110:111], v[32:33]
	;; [unrolled: 1-line block ×3, first 2 shown]
	v_fma_f64 v[36:37], v[96:97], s[20:21], v[106:107]
	v_add_f64 v[104:105], v[118:119], v[108:109]
	v_fma_f64 v[106:107], v[82:83], s[28:29], v[124:125]
	v_mul_f64 v[110:111], v[92:93], s[22:23]
	v_add_f64 v[100:101], v[120:121], v[100:101]
	v_fma_f64 v[108:109], v[88:89], s[16:17], -v[128:129]
	v_mul_f64 v[116:117], v[2:3], s[18:19]
	v_fma_f64 v[34:35], v[98:99], s[20:21], -v[34:35]
	v_fma_f64 v[118:119], v[64:65], s[0:1], v[28:29]
	v_fma_f64 v[102:103], v[66:67], s[0:1], -v[102:103]
	v_add_f64 v[28:29], v[36:37], v[30:31]
	v_add_f64 v[36:37], v[106:107], v[104:105]
	v_fma_f64 v[104:105], v[90:91], s[16:17], v[110:111]
	v_add_f64 v[100:101], v[108:109], v[100:101]
	v_fma_f64 v[106:107], v[96:97], s[6:7], -v[116:117]
	v_fma_f64 v[114:115], v[72:73], s[20:21], v[114:115]
	v_add_f64 v[118:119], v[118:119], v[136:137]
	v_add_f64 v[102:103], v[102:103], v[138:139]
	v_fma_f64 v[120:121], v[74:75], s[20:21], -v[122:123]
	v_add_f64 v[30:31], v[34:35], v[32:33]
	v_add_f64 v[34:35], v[104:105], v[36:37]
	v_mul_f64 v[36:37], v[70:71], s[22:23]
	v_mul_f64 v[68:69], v[68:69], s[22:23]
	v_add_f64 v[32:33], v[106:107], v[100:101]
	v_add_f64 v[100:101], v[114:115], v[118:119]
	v_fma_f64 v[104:105], v[80:81], s[28:29], v[126:127]
	v_add_f64 v[102:103], v[120:121], v[102:103]
	v_fma_f64 v[106:107], v[82:83], s[28:29], -v[124:125]
	v_mul_f64 v[108:109], v[0:1], s[18:19]
	v_fma_f64 v[114:115], v[64:65], s[16:17], -v[36:37]
	v_fma_f64 v[118:119], v[66:67], s[16:17], v[68:69]
	v_fma_f64 v[36:37], v[64:65], s[16:17], v[36:37]
	v_fma_f64 v[64:65], v[66:67], s[16:17], -v[68:69]
	v_mul_f64 v[66:67], v[78:79], s[26:27]
	v_mul_f64 v[68:69], v[76:77], s[26:27]
	v_add_f64 v[76:77], v[104:105], v[100:101]
	v_add_f64 v[78:79], v[106:107], v[102:103]
	;; [unrolled: 1-line block ×6, first 2 shown]
	v_fma_f64 v[100:101], v[72:73], s[24:25], -v[66:67]
	v_fma_f64 v[102:103], v[74:75], s[24:25], v[68:69]
	v_fma_f64 v[66:67], v[72:73], s[24:25], v[66:67]
	v_fma_f64 v[68:69], v[74:75], s[24:25], -v[68:69]
	v_mul_f64 v[72:73], v[86:87], s[36:37]
	v_mul_f64 v[74:75], v[84:85], s[36:37]
	;; [unrolled: 1-line block ×4, first 2 shown]
	v_add_f64 v[4:5], v[100:101], v[4:5]
	v_add_f64 v[6:7], v[102:103], v[6:7]
	;; [unrolled: 1-line block ×4, first 2 shown]
	v_fma_f64 v[66:67], v[80:81], s[20:21], -v[72:73]
	v_fma_f64 v[68:69], v[82:83], s[20:21], v[74:75]
	v_fma_f64 v[72:73], v[80:81], s[20:21], v[72:73]
	v_fma_f64 v[74:75], v[82:83], s[20:21], -v[74:75]
	v_mul_f64 v[80:81], v[94:95], s[18:19]
	v_mul_f64 v[82:83], v[92:93], s[18:19]
	v_fma_f64 v[84:85], v[88:89], s[16:17], v[128:129]
	v_fma_f64 v[86:87], v[90:91], s[16:17], -v[110:111]
	v_add_f64 v[4:5], v[66:67], v[4:5]
	v_add_f64 v[6:7], v[68:69], v[6:7]
	;; [unrolled: 1-line block ×4, first 2 shown]
	v_fma_f64 v[66:67], v[88:89], s[6:7], -v[80:81]
	v_fma_f64 v[68:69], v[90:91], s[6:7], v[82:83]
	v_fma_f64 v[72:73], v[88:89], s[6:7], v[80:81]
	v_fma_f64 v[74:75], v[90:91], s[6:7], -v[82:83]
	v_fma_f64 v[70:71], v[98:99], s[6:7], v[108:109]
	v_add_f64 v[76:77], v[84:85], v[76:77]
	v_add_f64 v[78:79], v[86:87], v[78:79]
	v_fma_f64 v[80:81], v[96:97], s[6:7], v[116:117]
	v_add_f64 v[4:5], v[66:67], v[4:5]
	v_add_f64 v[6:7], v[68:69], v[6:7]
	;; [unrolled: 1-line block ×4, first 2 shown]
	v_fma_f64 v[64:65], v[96:97], s[0:1], -v[2:3]
	v_fma_f64 v[68:69], v[98:99], s[0:1], v[0:1]
	v_fma_f64 v[72:73], v[96:97], s[0:1], v[2:3]
	v_fma_f64 v[74:75], v[98:99], s[0:1], -v[0:1]
	v_fma_f64 v[82:83], v[98:99], s[6:7], -v[108:109]
	v_add_f64 v[34:35], v[70:71], v[34:35]
	v_add_f64 v[0:1], v[80:81], v[76:77]
	s_barrier
	v_add_f64 v[4:5], v[64:65], v[4:5]
	v_add_f64 v[6:7], v[68:69], v[6:7]
	;; [unrolled: 1-line block ×3, first 2 shown]
	v_mul_lo_u16_e32 v36, 13, v44
	v_add_f64 v[66:67], v[74:75], v[66:67]
	v_lshlrev_b32_e32 v252, 4, v36
	v_add_f64 v[2:3], v[82:83], v[78:79]
	ds_write_b128 v252, v[52:55]
	ds_write_b128 v252, v[60:63] offset:16
	ds_write_b128 v252, v[8:11] offset:32
	;; [unrolled: 1-line block ×12, first 2 shown]
	s_waitcnt lgkmcnt(0)
	s_barrier
	ds_read_b128 v[60:63], v38
	ds_read_b128 v[64:67], v38 offset:2496
	ds_read_b128 v[80:83], v38 offset:16224
	;; [unrolled: 1-line block ×11, first 2 shown]
	s_load_dwordx2 s[6:7], s[4:5], 0x38
	v_cmp_gt_u16_e64 s[0:1], 39, v44
                                        ; implicit-def: $vgpr72_vgpr73
	s_and_saveexec_b64 s[4:5], s[0:1]
	s_cbranch_execz .LBB0_3
; %bb.2:
	ds_read_b128 v[56:59], v38 offset:7488
	ds_read_b128 v[72:75], v38 offset:15600
	;; [unrolled: 1-line block ×4, first 2 shown]
.LBB0_3:
	s_or_b64 exec, exec, s[4:5]
	s_movk_i32 s4, 0x138
	v_add_co_u32_e32 v0, vcc, s4, v44
	s_movk_i32 s4, 0x4f
	v_mul_lo_u16_sdwa v2, v44, s4 dst_sel:DWORD dst_unused:UNUSED_PAD src0_sel:BYTE_0 src1_sel:DWORD
	v_lshrrev_b16_e32 v37, 10, v2
	v_add_co_u32_e32 v1, vcc, 0x9c, v44
	v_mul_lo_u16_e32 v2, 13, v37
	s_movk_i32 s4, 0x4ec5
	v_sub_u16_e32 v9, v44, v2
	v_mul_u32_u24_sdwa v2, v1, s4 dst_sel:DWORD dst_unused:UNUSED_PAD src0_sel:WORD_0 src1_sel:DWORD
	v_lshrrev_b32_e32 v39, 18, v2
	v_mul_lo_u16_e32 v2, 13, v39
	v_sub_u16_e32 v40, v1, v2
	v_mul_lo_u16_e32 v2, 48, v40
	v_add_co_u32_e32 v3, vcc, s14, v2
	v_mul_u32_u24_sdwa v2, v0, s4 dst_sel:DWORD dst_unused:UNUSED_PAD src0_sel:WORD_0 src1_sel:DWORD
	v_lshrrev_b32_e32 v41, 18, v2
	v_mul_lo_u16_e32 v2, 13, v41
	v_sub_u16_e32 v42, v0, v2
	v_add_u16_e32 v2, 0x1d4, v44
	v_mov_b32_e32 v8, s15
	v_mul_u32_u24_e32 v5, 0x4ec5, v2
	v_addc_co_u32_e32 v4, vcc, 0, v8, vcc
	v_lshrrev_b32_e32 v5, 18, v5
	global_load_dwordx4 v[76:79], v[3:4], off offset:32
	global_load_dwordx4 v[92:95], v[3:4], off offset:16
	v_mul_lo_u16_e32 v7, 48, v42
	buffer_store_dword v5, off, s[48:51], 0 offset:204 ; 4-byte Folded Spill
	v_mul_lo_u16_e32 v5, 13, v5
	v_sub_u16_e32 v5, v2, v5
	buffer_store_dword v5, off, s[48:51], 0 offset:208 ; 4-byte Folded Spill
	v_mul_lo_u16_e32 v5, 48, v5
	v_add_co_u32_e32 v5, vcc, s14, v5
	v_addc_co_u32_e32 v6, vcc, 0, v8, vcc
	v_and_b32_e32 v43, 0xff, v9
	v_add_co_u32_e32 v7, vcc, s14, v7
	v_mad_u64_u32 v[9:10], s[4:5], v43, 48, s[14:15]
	v_addc_co_u32_e32 v8, vcc, 0, v8, vcc
	global_load_dwordx4 v[84:87], v[5:6], off offset:32
	global_load_dwordx4 v[88:91], v[5:6], off offset:16
	global_load_dwordx4 v[112:115], v[7:8], off offset:16
	global_load_dwordx4 v[116:119], v[7:8], off
	global_load_dwordx4 v[104:107], v[7:8], off offset:32
	global_load_dwordx4 v[100:103], v[5:6], off
	global_load_dwordx4 v[136:139], v[9:10], off
	global_load_dwordx4 v[132:135], v[9:10], off offset:16
	global_load_dwordx4 v[128:131], v[9:10], off offset:32
	global_load_dwordx4 v[124:127], v[3:4], off
	s_waitcnt vmcnt(0) lgkmcnt(0)
	s_barrier
	v_mul_f64 v[7:8], v[154:155], v[78:79]
	v_mul_f64 v[3:4], v[150:151], v[94:95]
	;; [unrolled: 1-line block ×4, first 2 shown]
	v_fma_f64 v[7:8], v[152:153], v[76:77], -v[7:8]
	v_fma_f64 v[3:4], v[148:149], v[92:93], -v[3:4]
	v_fma_f64 v[5:6], v[150:151], v[92:93], v[5:6]
	v_fma_f64 v[9:10], v[154:155], v[76:77], v[9:10]
	v_mul_f64 v[27:28], v[70:71], v[106:107]
	v_mul_f64 v[29:30], v[68:69], v[106:107]
	;; [unrolled: 1-line block ×18, first 2 shown]
	v_fma_f64 v[148:149], v[156:157], v[88:89], -v[11:12]
	v_fma_f64 v[150:151], v[158:159], v[88:89], v[13:14]
	v_fma_f64 v[140:141], v[140:141], v[116:117], -v[19:20]
	v_fma_f64 v[142:143], v[142:143], v[116:117], v[21:22]
	v_fma_f64 v[144:145], v[144:145], v[112:113], -v[23:24]
	v_fma_f64 v[146:147], v[146:147], v[112:113], v[25:26]
	v_fma_f64 v[11:12], v[108:109], v[136:137], -v[35:36]
	v_fma_f64 v[13:14], v[110:111], v[136:137], v[164:165]
	v_fma_f64 v[19:20], v[120:121], v[128:129], -v[170:171]
	v_fma_f64 v[21:22], v[122:123], v[128:129], v[172:173]
	v_fma_f64 v[23:24], v[96:97], v[124:125], -v[174:175]
	v_fma_f64 v[25:26], v[98:99], v[124:125], v[176:177]
	v_fma_f64 v[152:153], v[160:161], v[84:85], -v[15:16]
	v_fma_f64 v[154:155], v[162:163], v[84:85], v[17:18]
	v_fma_f64 v[15:16], v[80:81], v[132:133], -v[166:167]
	v_fma_f64 v[17:18], v[82:83], v[132:133], v[168:169]
	v_add_f64 v[35:36], v[64:65], -v[3:4]
	v_add_f64 v[80:81], v[66:67], -v[5:6]
	;; [unrolled: 1-line block ×6, first 2 shown]
	v_mul_f64 v[31:32], v[74:75], v[102:103]
	v_mul_f64 v[33:34], v[72:73], v[102:103]
	v_add_f64 v[15:16], v[60:61], -v[15:16]
	v_add_f64 v[17:18], v[62:63], -v[17:18]
	v_fma_f64 v[64:65], v[64:65], 2.0, -v[35:36]
	v_fma_f64 v[66:67], v[66:67], 2.0, -v[80:81]
	;; [unrolled: 1-line block ×8, first 2 shown]
	v_fma_f64 v[60:61], v[68:69], v[104:105], -v[27:28]
	v_fma_f64 v[62:63], v[70:71], v[104:105], v[29:30]
	v_fma_f64 v[31:32], v[72:73], v[100:101], -v[31:32]
	v_fma_f64 v[33:34], v[74:75], v[100:101], v[33:34]
	v_add_f64 v[11:12], v[64:65], -v[11:12]
	v_add_f64 v[13:14], v[66:67], -v[13:14]
	;; [unrolled: 1-line block ×8, first 2 shown]
	v_fma_f64 v[23:24], v[64:65], 2.0, -v[11:12]
	v_fma_f64 v[25:26], v[66:67], 2.0, -v[13:14]
	v_add_f64 v[64:65], v[52:53], -v[144:145]
	v_add_f64 v[66:67], v[54:55], -v[146:147]
	;; [unrolled: 1-line block ×3, first 2 shown]
	v_add_f64 v[29:30], v[80:81], v[82:83]
	v_fma_f64 v[98:99], v[56:57], 2.0, -v[68:69]
	v_fma_f64 v[108:109], v[58:59], 2.0, -v[70:71]
	;; [unrolled: 1-line block ×8, first 2 shown]
	v_add_f64 v[7:8], v[19:20], -v[7:8]
	v_add_f64 v[9:10], v[21:22], -v[9:10]
	;; [unrolled: 1-line block ×3, first 2 shown]
	v_add_f64 v[5:6], v[17:18], v[5:6]
	v_add_f64 v[164:165], v[98:99], -v[110:111]
	v_add_f64 v[166:167], v[108:109], -v[120:121]
	;; [unrolled: 1-line block ×5, first 2 shown]
	v_add_f64 v[142:143], v[70:71], v[72:73]
	v_add_f64 v[56:57], v[64:65], -v[62:63]
	v_add_f64 v[58:59], v[66:67], v[60:61]
	v_fma_f64 v[19:20], v[19:20], 2.0, -v[7:8]
	v_fma_f64 v[21:22], v[21:22], 2.0, -v[9:10]
	;; [unrolled: 1-line block ×14, first 2 shown]
	v_mul_u32_u24_e32 v35, 52, v37
	v_add_lshl_u32 v35, v35, v43, 4
	ds_write_b128 v35, v[19:22]
	ds_write_b128 v35, v[15:18] offset:208
	ds_write_b128 v35, v[7:10] offset:416
	;; [unrolled: 1-line block ×3, first 2 shown]
	v_mad_legacy_u16 v3, v39, 52, v40
	v_lshlrev_b32_e32 v3, 4, v3
	buffer_store_dword v35, off, s[48:51], 0 offset:212 ; 4-byte Folded Spill
	ds_write_b128 v3, v[23:26]
	ds_write_b128 v3, v[31:34] offset:208
	ds_write_b128 v3, v[11:14] offset:416
	buffer_store_dword v3, off, s[48:51], 0 offset:216 ; 4-byte Folded Spill
	ds_write_b128 v3, v[27:30] offset:624
	v_mad_legacy_u16 v3, v41, 52, v42
	v_lshlrev_b32_e32 v3, 4, v3
	ds_write_b128 v3, v[60:63]
	ds_write_b128 v3, v[64:67] offset:208
	ds_write_b128 v3, v[52:55] offset:416
	buffer_store_dword v3, off, s[48:51], 0 offset:220 ; 4-byte Folded Spill
	ds_write_b128 v3, v[56:59] offset:624
	s_and_saveexec_b64 s[4:5], s[0:1]
	s_cbranch_execz .LBB0_5
; %bb.4:
	buffer_load_dword v3, off, s[48:51], 0 offset:204 ; 4-byte Folded Reload
	buffer_load_dword v4, off, s[48:51], 0 offset:208 ; 4-byte Folded Reload
	s_waitcnt vmcnt(0)
	v_mad_legacy_u16 v3, v3, 52, v4
	v_lshlrev_b32_e32 v3, 4, v3
	ds_write_b128 v3, v[144:147]
	ds_write_b128 v3, v[168:171] offset:208
	ds_write_b128 v3, v[164:167] offset:416
	;; [unrolled: 1-line block ×3, first 2 shown]
.LBB0_5:
	s_or_b64 exec, exec, s[4:5]
	s_waitcnt vmcnt(0) lgkmcnt(0)
	s_barrier
	ds_read_b128 v[160:163], v38
	ds_read_b128 v[156:159], v38 offset:2496
	ds_read_b128 v[72:75], v38 offset:10816
	;; [unrolled: 1-line block ×11, first 2 shown]
	v_cmp_gt_u16_e32 vcc, 52, v44
	s_and_saveexec_b64 s[4:5], vcc
	s_cbranch_execz .LBB0_7
; %bb.6:
	ds_read_b128 v[144:147], v38 offset:9984
	ds_read_b128 v[168:171], v38 offset:20800
	;; [unrolled: 1-line block ×3, first 2 shown]
.LBB0_7:
	s_or_b64 exec, exec, s[4:5]
	s_movk_i32 s4, 0x4f
	v_mul_lo_u16_sdwa v3, v44, s4 dst_sel:DWORD dst_unused:UNUSED_PAD src0_sel:BYTE_0 src1_sel:DWORD
	v_lshrrev_b16_e32 v24, 12, v3
	v_mul_lo_u16_e32 v3, 52, v24
	v_sub_u16_e32 v3, v44, v3
	v_and_b32_e32 v25, 0xff, v3
	v_lshlrev_b32_e32 v3, 5, v25
	global_load_dwordx4 v[56:59], v3, s[14:15] offset:640
	global_load_dwordx4 v[64:67], v3, s[14:15] offset:624
	s_movk_i32 s12, 0x4ec5
	v_mov_b32_e32 v6, s15
	v_add_u32_e32 v5, 0x270, v44
	s_mov_b32 s17, 0xbfebb67a
	s_waitcnt vmcnt(0) lgkmcnt(9)
	v_mul_f64 v[3:4], v[74:75], v[66:67]
	v_fma_f64 v[33:34], v[72:73], v[64:65], -v[3:4]
	v_mul_f64 v[3:4], v[72:73], v[66:67]
	v_fma_f64 v[35:36], v[74:75], v[64:65], v[3:4]
	s_waitcnt lgkmcnt(7)
	v_mul_f64 v[3:4], v[70:71], v[58:59]
	v_fma_f64 v[172:173], v[68:69], v[56:57], -v[3:4]
	v_mul_f64 v[3:4], v[68:69], v[58:59]
	v_fma_f64 v[174:175], v[70:71], v[56:57], v[3:4]
	v_mul_u32_u24_sdwa v3, v1, s12 dst_sel:DWORD dst_unused:UNUSED_PAD src0_sel:WORD_0 src1_sel:DWORD
	v_lshrrev_b32_e32 v26, 20, v3
	v_mul_lo_u16_e32 v3, 52, v26
	v_sub_u16_e32 v27, v1, v3
	v_lshlrev_b16_e32 v1, 5, v27
	v_add_co_u32_e64 v3, s[4:5], s14, v1
	v_addc_co_u32_e64 v4, s[4:5], 0, v6, s[4:5]
	global_load_dwordx4 v[68:71], v[3:4], off offset:640
	global_load_dwordx4 v[72:75], v[3:4], off offset:624
	v_mul_u32_u24_sdwa v1, v0, s12 dst_sel:DWORD dst_unused:UNUSED_PAD src0_sel:WORD_0 src1_sel:DWORD
	v_lshrrev_b32_e32 v28, 20, v1
	v_mul_lo_u16_e32 v1, 52, v28
	v_sub_u16_e32 v29, v0, v1
	v_lshlrev_b16_e32 v0, 5, v29
	v_add_co_u32_e64 v0, s[4:5], s14, v0
	v_addc_co_u32_e64 v1, s[4:5], 0, v6, s[4:5]
	s_waitcnt vmcnt(0)
	v_mul_f64 v[3:4], v[98:99], v[74:75]
	v_fma_f64 v[176:177], v[96:97], v[72:73], -v[3:4]
	v_mul_f64 v[3:4], v[96:97], v[74:75]
	v_fma_f64 v[178:179], v[98:99], v[72:73], v[3:4]
	s_waitcnt lgkmcnt(6)
	v_mul_f64 v[3:4], v[82:83], v[70:71]
	v_fma_f64 v[180:181], v[80:81], v[68:69], -v[3:4]
	v_mul_f64 v[3:4], v[80:81], v[70:71]
	v_fma_f64 v[182:183], v[82:83], v[68:69], v[3:4]
	global_load_dwordx4 v[80:83], v[0:1], off offset:640
	global_load_dwordx4 v[96:99], v[0:1], off offset:624
	s_waitcnt vmcnt(0) lgkmcnt(3)
	v_mul_f64 v[0:1], v[122:123], v[98:99]
	v_fma_f64 v[8:9], v[120:121], v[96:97], -v[0:1]
	v_mul_f64 v[0:1], v[120:121], v[98:99]
	v_fma_f64 v[20:21], v[122:123], v[96:97], v[0:1]
	s_waitcnt lgkmcnt(1)
	v_mul_f64 v[0:1], v[110:111], v[82:83]
	v_fma_f64 v[10:11], v[108:109], v[80:81], -v[0:1]
	v_mul_f64 v[0:1], v[108:109], v[82:83]
	v_fma_f64 v[22:23], v[110:111], v[80:81], v[0:1]
	v_mul_u32_u24_e32 v0, 0x4ec5, v2
	v_lshrrev_b32_e32 v30, 20, v0
	v_mul_lo_u16_e32 v0, 52, v30
	v_sub_u16_e32 v31, v2, v0
	v_lshlrev_b16_e32 v0, 5, v31
	v_add_co_u32_e64 v0, s[4:5], s14, v0
	v_addc_co_u32_e64 v1, s[4:5], 0, v6, s[4:5]
	global_load_dwordx4 v[108:111], v[0:1], off offset:640
	global_load_dwordx4 v[120:123], v[0:1], off offset:624
	s_waitcnt vmcnt(0)
	v_mul_f64 v[0:1], v[62:63], v[122:123]
	v_fma_f64 v[12:13], v[60:61], v[120:121], -v[0:1]
	v_mul_f64 v[0:1], v[60:61], v[122:123]
	v_fma_f64 v[14:15], v[62:63], v[120:121], v[0:1]
	s_waitcnt lgkmcnt(0)
	v_mul_f64 v[0:1], v[54:55], v[110:111]
	v_fma_f64 v[16:17], v[52:53], v[108:109], -v[0:1]
	v_mul_f64 v[0:1], v[52:53], v[110:111]
	v_fma_f64 v[18:19], v[54:55], v[108:109], v[0:1]
	v_mul_u32_u24_sdwa v0, v5, s12 dst_sel:DWORD dst_unused:UNUSED_PAD src0_sel:WORD_0 src1_sel:DWORD
	v_lshrrev_b32_e32 v0, 20, v0
	v_mul_lo_u16_e32 v0, 52, v0
	v_sub_u16_e32 v32, v5, v0
	v_lshlrev_b16_e32 v0, 5, v32
	v_add_co_u32_e64 v0, s[4:5], s14, v0
	v_addc_co_u32_e64 v1, s[4:5], 0, v6, s[4:5]
	global_load_dwordx4 v[52:55], v[0:1], off offset:640
	global_load_dwordx4 v[60:63], v[0:1], off offset:624
	s_mov_b32 s4, 0xe8584caa
	s_mov_b32 s5, 0x3febb67a
	;; [unrolled: 1-line block ×3, first 2 shown]
	s_waitcnt vmcnt(0)
	s_barrier
	v_mul_f64 v[4:5], v[164:165], v[54:55]
	v_mul_f64 v[2:3], v[168:169], v[62:63]
	;; [unrolled: 1-line block ×3, first 2 shown]
	v_fma_f64 v[4:5], v[166:167], v[52:53], v[4:5]
	v_fma_f64 v[6:7], v[170:171], v[60:61], v[2:3]
	v_mul_f64 v[2:3], v[166:167], v[54:55]
	v_add_f64 v[166:167], v[33:34], v[172:173]
	v_fma_f64 v[0:1], v[168:169], v[60:61], -v[0:1]
	v_add_f64 v[168:169], v[35:36], -v[174:175]
	v_fma_f64 v[2:3], v[164:165], v[52:53], -v[2:3]
	v_fma_f64 v[166:167], v[166:167], -0.5, v[160:161]
	v_add_f64 v[164:165], v[160:161], v[33:34]
	v_add_f64 v[33:34], v[33:34], -v[172:173]
	v_fma_f64 v[160:161], v[168:169], s[4:5], v[166:167]
	v_fma_f64 v[168:169], v[168:169], s[16:17], v[166:167]
	v_add_f64 v[166:167], v[162:163], v[35:36]
	v_add_f64 v[35:36], v[35:36], v[174:175]
	;; [unrolled: 1-line block ×3, first 2 shown]
	v_add_f64 v[172:173], v[178:179], -v[182:183]
	v_add_f64 v[166:167], v[166:167], v[174:175]
	v_fma_f64 v[35:36], v[35:36], -0.5, v[162:163]
	v_add_f64 v[174:175], v[178:179], v[182:183]
	v_fma_f64 v[162:163], v[33:34], s[16:17], v[35:36]
	v_fma_f64 v[170:171], v[33:34], s[4:5], v[35:36]
	v_add_f64 v[35:36], v[176:177], v[180:181]
	v_add_f64 v[33:34], v[156:157], v[176:177]
	v_fma_f64 v[174:175], v[174:175], -0.5, v[158:159]
	v_add_f64 v[176:177], v[176:177], -v[180:181]
	v_fma_f64 v[35:36], v[35:36], -0.5, v[156:157]
	v_add_f64 v[33:34], v[33:34], v[180:181]
	v_add_f64 v[180:181], v[20:21], -v[22:23]
	v_fma_f64 v[156:157], v[172:173], s[4:5], v[35:36]
	v_fma_f64 v[172:173], v[172:173], s[16:17], v[35:36]
	v_add_f64 v[35:36], v[158:159], v[178:179]
	v_add_f64 v[178:179], v[8:9], v[10:11]
	v_fma_f64 v[158:159], v[176:177], s[16:17], v[174:175]
	v_fma_f64 v[174:175], v[176:177], s[4:5], v[174:175]
	v_add_f64 v[176:177], v[152:153], v[8:9]
	v_add_f64 v[8:9], v[8:9], -v[10:11]
	v_add_f64 v[35:36], v[35:36], v[182:183]
	v_fma_f64 v[178:179], v[178:179], -0.5, v[152:153]
	v_add_f64 v[176:177], v[176:177], v[10:11]
	v_add_f64 v[10:11], v[12:13], v[16:17]
	v_fma_f64 v[152:153], v[180:181], s[4:5], v[178:179]
	v_fma_f64 v[180:181], v[180:181], s[16:17], v[178:179]
	v_add_f64 v[178:179], v[154:155], v[20:21]
	v_add_f64 v[20:21], v[20:21], v[22:23]
	v_fma_f64 v[10:11], v[10:11], -0.5, v[148:149]
	v_add_f64 v[178:179], v[178:179], v[22:23]
	v_fma_f64 v[20:21], v[20:21], -0.5, v[154:155]
	v_add_f64 v[22:23], v[14:15], -v[18:19]
	v_fma_f64 v[154:155], v[8:9], s[16:17], v[20:21]
	v_fma_f64 v[182:183], v[8:9], s[4:5], v[20:21]
	v_add_f64 v[8:9], v[148:149], v[12:13]
	v_fma_f64 v[20:21], v[22:23], s[4:5], v[10:11]
	v_fma_f64 v[148:149], v[22:23], s[16:17], v[10:11]
	v_add_f64 v[10:11], v[150:151], v[14:15]
	v_add_f64 v[14:15], v[14:15], v[18:19]
	v_add_f64 v[12:13], v[12:13], -v[16:17]
	v_add_f64 v[8:9], v[8:9], v[16:17]
	v_add_f64 v[10:11], v[10:11], v[18:19]
	v_fma_f64 v[14:15], v[14:15], -0.5, v[150:151]
	v_fma_f64 v[22:23], v[12:13], s[16:17], v[14:15]
	v_fma_f64 v[150:151], v[12:13], s[4:5], v[14:15]
	v_add_f64 v[12:13], v[0:1], v[2:3]
	v_add_f64 v[14:15], v[6:7], -v[4:5]
	v_fma_f64 v[12:13], v[12:13], -0.5, v[144:145]
	v_fma_f64 v[196:197], v[14:15], s[4:5], v[12:13]
	v_fma_f64 v[192:193], v[14:15], s[16:17], v[12:13]
	v_add_f64 v[12:13], v[6:7], v[4:5]
	v_add_f64 v[14:15], v[0:1], -v[2:3]
	v_fma_f64 v[12:13], v[12:13], -0.5, v[146:147]
	v_fma_f64 v[198:199], v[14:15], s[16:17], v[12:13]
	v_fma_f64 v[194:195], v[14:15], s[4:5], v[12:13]
	v_mul_u32_u24_e32 v12, 0x9c, v24
	s_movk_i32 s4, 0x9c
	v_add_lshl_u32 v12, v12, v25, 4
	ds_write_b128 v12, v[164:167]
	ds_write_b128 v12, v[160:163] offset:832
	buffer_store_dword v12, off, s[48:51], 0 offset:228 ; 4-byte Folded Spill
	ds_write_b128 v12, v[168:171] offset:1664
	v_mad_legacy_u16 v12, v26, s4, v27
	v_lshlrev_b32_e32 v12, 4, v12
	ds_write_b128 v12, v[33:36]
	ds_write_b128 v12, v[156:159] offset:832
	buffer_store_dword v12, off, s[48:51], 0 offset:232 ; 4-byte Folded Spill
	ds_write_b128 v12, v[172:175] offset:1664
	v_mad_legacy_u16 v12, v28, s4, v29
	v_lshlrev_b32_e32 v12, 4, v12
	;; [unrolled: 6-line block ×3, first 2 shown]
	ds_write_b128 v12, v[8:11]
	ds_write_b128 v12, v[20:23] offset:832
	v_lshlrev_b32_e32 v8, 4, v32
	buffer_store_dword v12, off, s[48:51], 0 offset:240 ; 4-byte Folded Spill
	ds_write_b128 v12, v[148:151] offset:1664
	buffer_store_dword v8, off, s[48:51], 0 offset:224 ; 4-byte Folded Spill
	s_and_saveexec_b64 s[4:5], vcc
	s_cbranch_execz .LBB0_9
; %bb.8:
	v_add_f64 v[0:1], v[144:145], v[0:1]
	v_add_f64 v[6:7], v[146:147], v[6:7]
	;; [unrolled: 1-line block ×3, first 2 shown]
	buffer_load_dword v0, off, s[48:51], 0 offset:224 ; 4-byte Folded Reload
	v_add_f64 v[4:5], v[6:7], v[4:5]
	s_waitcnt vmcnt(0)
	ds_write_b128 v0, v[196:199] offset:30784
	ds_write_b128 v0, v[2:5] offset:29952
	;; [unrolled: 1-line block ×3, first 2 shown]
.LBB0_9:
	s_or_b64 exec, exec, s[4:5]
	v_mov_b32_e32 v0, s13
	v_addc_co_u32_e64 v39, s[2:3], 0, v0, s[2:3]
	v_mov_b32_e32 v37, s15
	s_movk_i32 s2, 0xc0
	v_mov_b32_e32 v36, s14
	v_mad_u64_u32 v[36:37], s[2:3], v44, s2, v[36:37]
	s_waitcnt vmcnt(0) lgkmcnt(0)
	s_barrier
	ds_read_b128 v[204:207], v38
	ds_read_b128 v[0:3], v38 offset:2496
	ds_read_b128 v[4:7], v38 offset:4992
	;; [unrolled: 1-line block ×12, first 2 shown]
	buffer_store_dword v44, off, s[48:51], 0 offset:8 ; 4-byte Folded Spill
	global_load_dwordx4 v[152:155], v[36:37], off offset:2336
	global_load_dwordx4 v[156:159], v[36:37], off offset:2320
	global_load_dwordx4 v[164:167], v[36:37], off offset:2304
	global_load_dwordx4 v[172:175], v[36:37], off offset:2288
	s_mov_b32 s22, 0x4267c47c
	s_mov_b32 s23, 0xbfddbe06
	;; [unrolled: 1-line block ×31, first 2 shown]
	s_movk_i32 s2, 0x7ec0
	s_waitcnt vmcnt(0) lgkmcnt(11)
	v_mul_f64 v[144:145], v[2:3], v[174:175]
	v_fma_f64 v[253:254], v[0:1], v[172:173], -v[144:145]
	global_load_dwordx4 v[144:147], v[36:37], off offset:2400
	global_load_dwordx4 v[148:151], v[36:37], off offset:2384
	;; [unrolled: 1-line block ×4, first 2 shown]
	v_mul_f64 v[0:1], v[0:1], v[174:175]
	global_load_dwordx4 v[180:183], v[36:37], off offset:2464
	global_load_dwordx4 v[168:171], v[36:37], off offset:2448
	global_load_dwordx4 v[176:179], v[36:37], off offset:2432
	global_load_dwordx4 v[188:191], v[36:37], off offset:2416
	v_fma_f64 v[0:1], v[2:3], v[172:173], v[0:1]
	s_waitcnt lgkmcnt(10)
	v_mul_f64 v[2:3], v[6:7], v[166:167]
	v_fma_f64 v[240:241], v[4:5], v[164:165], -v[2:3]
	v_mul_f64 v[2:3], v[4:5], v[166:167]
	v_fma_f64 v[242:243], v[6:7], v[164:165], v[2:3]
	s_waitcnt lgkmcnt(9)
	v_mul_f64 v[2:3], v[10:11], v[158:159]
	v_fma_f64 v[234:235], v[8:9], v[156:157], -v[2:3]
	v_mul_f64 v[2:3], v[8:9], v[158:159]
	v_fma_f64 v[232:233], v[10:11], v[156:157], v[2:3]
	s_waitcnt lgkmcnt(8)
	v_mul_f64 v[2:3], v[14:15], v[154:155]
	v_add_f64 v[10:11], v[204:205], v[253:254]
	v_fma_f64 v[226:227], v[12:13], v[152:153], -v[2:3]
	v_mul_f64 v[2:3], v[12:13], v[154:155]
	v_add_f64 v[10:11], v[10:11], v[240:241]
	v_add_f64 v[12:13], v[206:207], v[0:1]
	v_fma_f64 v[224:225], v[14:15], v[152:153], v[2:3]
	v_add_f64 v[10:11], v[10:11], v[234:235]
	v_add_f64 v[12:13], v[12:13], v[242:243]
	v_add_f64 v[10:11], v[10:11], v[226:227]
	v_add_f64 v[12:13], v[12:13], v[232:233]
	s_waitcnt vmcnt(3) lgkmcnt(0)
	v_mul_f64 v[8:9], v[248:249], v[182:183]
	v_mul_f64 v[2:3], v[18:19], v[186:187]
	v_add_f64 v[12:13], v[12:13], v[224:225]
	v_mul_f64 v[6:7], v[250:251], v[182:183]
	s_waitcnt vmcnt(2)
	v_mul_f64 v[4:5], v[244:245], v[170:171]
	v_fma_f64 v[8:9], v[250:251], v[180:181], v[8:9]
	v_fma_f64 v[220:221], v[16:17], v[184:185], -v[2:3]
	v_mul_f64 v[2:3], v[16:17], v[186:187]
	v_fma_f64 v[6:7], v[248:249], v[180:181], -v[6:7]
	v_fma_f64 v[4:5], v[246:247], v[168:169], v[4:5]
	v_add_f64 v[42:43], v[0:1], v[8:9]
	v_add_f64 v[10:11], v[10:11], v[220:221]
	v_fma_f64 v[216:217], v[18:19], v[184:185], v[2:3]
	v_mul_f64 v[2:3], v[22:23], v[162:163]
	v_add_f64 v[40:41], v[253:254], v[6:7]
	v_add_f64 v[12:13], v[12:13], v[216:217]
	v_fma_f64 v[212:213], v[20:21], v[160:161], -v[2:3]
	v_mul_f64 v[2:3], v[20:21], v[162:163]
	v_add_f64 v[20:21], v[0:1], -v[8:9]
	v_add_f64 v[10:11], v[10:11], v[212:213]
	v_fma_f64 v[208:209], v[22:23], v[160:161], v[2:3]
	v_mul_f64 v[2:3], v[26:27], v[150:151]
	v_mul_f64 v[0:1], v[20:21], s[22:23]
	v_add_f64 v[22:23], v[253:254], -v[6:7]
	v_mul_f64 v[44:45], v[20:21], s[30:31]
	v_add_f64 v[12:13], v[12:13], v[208:209]
	v_fma_f64 v[214:215], v[24:25], v[148:149], -v[2:3]
	v_mul_f64 v[2:3], v[24:25], v[150:151]
	v_mul_f64 v[248:249], v[22:23], s[26:27]
	;; [unrolled: 1-line block ×3, first 2 shown]
	v_add_f64 v[10:11], v[10:11], v[214:215]
	v_fma_f64 v[210:211], v[26:27], v[148:149], v[2:3]
	v_mul_f64 v[2:3], v[30:31], v[146:147]
	v_add_f64 v[12:13], v[12:13], v[210:211]
	v_fma_f64 v[222:223], v[28:29], v[144:145], -v[2:3]
	v_mul_f64 v[2:3], v[28:29], v[146:147]
	v_add_f64 v[10:11], v[10:11], v[222:223]
	v_fma_f64 v[218:219], v[30:31], v[144:145], v[2:3]
	s_waitcnt vmcnt(0)
	v_mul_f64 v[2:3], v[34:35], v[190:191]
	v_add_f64 v[12:13], v[12:13], v[218:219]
	v_fma_f64 v[230:231], v[32:33], v[188:189], -v[2:3]
	v_mul_f64 v[2:3], v[32:33], v[190:191]
	v_add_f64 v[10:11], v[10:11], v[230:231]
	v_fma_f64 v[228:229], v[34:35], v[188:189], v[2:3]
	v_mul_f64 v[2:3], v[202:203], v[178:179]
	v_add_f64 v[12:13], v[12:13], v[228:229]
	v_fma_f64 v[238:239], v[200:201], v[176:177], -v[2:3]
	v_mul_f64 v[2:3], v[200:201], v[178:179]
	v_add_f64 v[10:11], v[10:11], v[238:239]
	v_fma_f64 v[236:237], v[202:203], v[176:177], v[2:3]
	v_mul_f64 v[2:3], v[246:247], v[170:171]
	v_mul_f64 v[246:247], v[20:21], s[26:27]
	v_add_f64 v[12:13], v[12:13], v[236:237]
	v_fma_f64 v[2:3], v[244:245], v[168:169], -v[2:3]
	v_fma_f64 v[32:33], v[40:41], s[28:29], -v[246:247]
	v_fma_f64 v[246:247], v[40:41], s[28:29], v[246:247]
	v_fma_f64 v[244:245], v[42:43], s[28:29], v[248:249]
	v_fma_f64 v[248:249], v[42:43], s[28:29], -v[248:249]
	v_add_f64 v[12:13], v[12:13], v[4:5]
	v_add_f64 v[10:11], v[10:11], v[2:3]
	;; [unrolled: 1-line block ×8, first 2 shown]
	v_fma_f64 v[6:7], v[40:41], s[24:25], -v[0:1]
	v_fma_f64 v[0:1], v[40:41], s[24:25], v[0:1]
	v_mul_f64 v[10:11], v[22:23], s[18:19]
	v_add_f64 v[36:37], v[204:205], v[6:7]
	v_mul_f64 v[6:7], v[22:23], s[22:23]
	v_add_f64 v[14:15], v[204:205], v[0:1]
	v_fma_f64 v[0:1], v[42:43], s[24:25], -v[6:7]
	v_fma_f64 v[8:9], v[42:43], s[24:25], v[6:7]
	v_add_f64 v[16:17], v[206:207], v[0:1]
	v_mul_f64 v[0:1], v[20:21], s[16:17]
	v_add_f64 v[12:13], v[206:207], v[8:9]
	v_fma_f64 v[6:7], v[40:41], s[14:15], -v[0:1]
	v_fma_f64 v[0:1], v[40:41], s[14:15], v[0:1]
	;; [unrolled: 5-line block ×4, first 2 shown]
	v_add_f64 v[34:35], v[204:205], v[6:7]
	v_mul_f64 v[6:7], v[22:23], s[4:5]
	v_add_f64 v[253:254], v[204:205], v[0:1]
	v_fma_f64 v[22:23], v[42:43], s[34:35], v[46:47]
	v_fma_f64 v[8:9], v[42:43], s[12:13], v[6:7]
	v_fma_f64 v[0:1], v[42:43], s[12:13], -v[6:7]
	v_add_f64 v[22:23], v[206:207], v[22:23]
	v_add_f64 v[250:251], v[206:207], v[8:9]
	v_mul_f64 v[8:9], v[20:21], s[18:19]
	v_fma_f64 v[20:21], v[40:41], s[34:35], -v[44:45]
	v_add_f64 v[0:1], v[206:207], v[0:1]
	v_fma_f64 v[6:7], v[40:41], s[20:21], -v[8:9]
	v_fma_f64 v[8:9], v[40:41], s[20:21], v[8:9]
	v_fma_f64 v[40:41], v[40:41], s[34:35], v[44:45]
	v_add_f64 v[20:21], v[204:205], v[20:21]
	v_add_f64 v[44:45], v[240:241], -v[2:3]
	v_add_f64 v[18:19], v[204:205], v[6:7]
	v_fma_f64 v[6:7], v[42:43], s[20:21], v[10:11]
	v_add_f64 v[8:9], v[204:205], v[8:9]
	v_fma_f64 v[10:11], v[42:43], s[20:21], -v[10:11]
	v_add_f64 v[204:205], v[204:205], v[40:41]
	v_fma_f64 v[40:41], v[42:43], s[34:35], -v[46:47]
	v_add_f64 v[42:43], v[242:243], v[4:5]
	v_add_f64 v[4:5], v[242:243], -v[4:5]
	v_add_f64 v[6:7], v[206:207], v[6:7]
	v_add_f64 v[10:11], v[206:207], v[10:11]
	;; [unrolled: 1-line block ×4, first 2 shown]
	v_mul_f64 v[46:47], v[4:5], s[16:17]
	v_fma_f64 v[2:3], v[40:41], s[14:15], -v[46:47]
	v_fma_f64 v[46:47], v[40:41], s[14:15], v[46:47]
	v_add_f64 v[2:3], v[2:3], v[36:37]
	v_mul_f64 v[36:37], v[44:45], s[16:17]
	v_add_f64 v[14:15], v[46:47], v[14:15]
	v_fma_f64 v[240:241], v[42:43], s[14:15], v[36:37]
	v_fma_f64 v[36:37], v[42:43], s[14:15], -v[36:37]
	v_add_f64 v[12:13], v[240:241], v[12:13]
	v_add_f64 v[16:17], v[36:37], v[16:17]
	v_mul_f64 v[36:37], v[4:5], s[18:19]
	v_fma_f64 v[46:47], v[40:41], s[20:21], -v[36:37]
	v_fma_f64 v[36:37], v[40:41], s[20:21], v[36:37]
	v_add_f64 v[30:31], v[46:47], v[30:31]
	v_mul_f64 v[46:47], v[44:45], s[18:19]
	v_add_f64 v[26:27], v[36:37], v[26:27]
	v_fma_f64 v[36:37], v[42:43], s[20:21], -v[46:47]
	v_fma_f64 v[240:241], v[42:43], s[20:21], v[46:47]
	v_add_f64 v[28:29], v[36:37], v[28:29]
	v_mul_f64 v[36:37], v[4:5], s[30:31]
	v_add_f64 v[24:25], v[240:241], v[24:25]
	;; [unrolled: 5-line block ×3, first 2 shown]
	v_fma_f64 v[240:241], v[42:43], s[34:35], v[46:47]
	v_fma_f64 v[46:47], v[42:43], s[34:35], -v[46:47]
	v_add_f64 v[240:241], v[240:241], v[250:251]
	v_add_f64 v[0:1], v[46:47], v[0:1]
	v_mul_f64 v[46:47], v[4:5], s[38:39]
	v_fma_f64 v[242:243], v[40:41], s[28:29], -v[46:47]
	v_fma_f64 v[46:47], v[40:41], s[28:29], v[46:47]
	v_add_f64 v[18:19], v[242:243], v[18:19]
	v_mul_f64 v[242:243], v[44:45], s[38:39]
	v_add_f64 v[8:9], v[46:47], v[8:9]
	v_fma_f64 v[46:47], v[42:43], s[28:29], -v[242:243]
	v_fma_f64 v[250:251], v[42:43], s[28:29], v[242:243]
	v_add_f64 v[10:11], v[46:47], v[10:11]
	v_mul_f64 v[46:47], v[4:5], s[36:37]
	v_mul_f64 v[4:5], v[4:5], s[40:41]
	v_add_f64 v[6:7], v[250:251], v[6:7]
	v_fma_f64 v[242:243], v[40:41], s[12:13], -v[46:47]
	v_fma_f64 v[46:47], v[40:41], s[12:13], v[46:47]
	v_add_f64 v[32:33], v[242:243], v[32:33]
	v_mul_f64 v[242:243], v[44:45], s[36:37]
	v_mul_f64 v[44:45], v[44:45], s[40:41]
	v_add_f64 v[46:47], v[46:47], v[246:247]
	v_fma_f64 v[246:247], v[40:41], s[24:25], -v[4:5]
	v_fma_f64 v[4:5], v[40:41], s[24:25], v[4:5]
	v_fma_f64 v[250:251], v[42:43], s[12:13], v[242:243]
	v_fma_f64 v[40:41], v[42:43], s[24:25], -v[44:45]
	v_fma_f64 v[242:243], v[42:43], s[12:13], -v[242:243]
	v_add_f64 v[20:21], v[246:247], v[20:21]
	v_fma_f64 v[246:247], v[42:43], s[24:25], v[44:45]
	v_add_f64 v[42:43], v[234:235], v[238:239]
	v_add_f64 v[44:45], v[232:233], v[236:237]
	;; [unrolled: 1-line block ×3, first 2 shown]
	v_add_f64 v[204:205], v[234:235], -v[238:239]
	v_add_f64 v[40:41], v[40:41], v[206:207]
	v_add_f64 v[206:207], v[232:233], -v[236:237]
	v_add_f64 v[242:243], v[242:243], v[248:249]
	v_add_f64 v[22:23], v[246:247], v[22:23]
	;; [unrolled: 1-line block ×3, first 2 shown]
	v_mul_f64 v[232:233], v[206:207], s[4:5]
	v_fma_f64 v[234:235], v[42:43], s[12:13], -v[232:233]
	v_fma_f64 v[232:233], v[42:43], s[12:13], v[232:233]
	v_add_f64 v[2:3], v[234:235], v[2:3]
	v_mul_f64 v[234:235], v[204:205], s[4:5]
	v_add_f64 v[14:15], v[232:233], v[14:15]
	v_fma_f64 v[232:233], v[44:45], s[12:13], -v[234:235]
	v_fma_f64 v[236:237], v[44:45], s[12:13], v[234:235]
	v_add_f64 v[16:17], v[232:233], v[16:17]
	v_mul_f64 v[232:233], v[206:207], s[30:31]
	v_add_f64 v[12:13], v[236:237], v[12:13]
	v_fma_f64 v[234:235], v[42:43], s[34:35], -v[232:233]
	v_fma_f64 v[232:233], v[42:43], s[34:35], v[232:233]
	v_add_f64 v[30:31], v[234:235], v[30:31]
	v_mul_f64 v[234:235], v[204:205], s[30:31]
	v_add_f64 v[26:27], v[232:233], v[26:27]
	v_fma_f64 v[232:233], v[44:45], s[34:35], -v[234:235]
	v_fma_f64 v[236:237], v[44:45], s[34:35], v[234:235]
	v_add_f64 v[28:29], v[232:233], v[28:29]
	v_mul_f64 v[232:233], v[206:207], s[42:43]
	v_add_f64 v[24:25], v[236:237], v[24:25]
	v_fma_f64 v[234:235], v[42:43], s[20:21], -v[232:233]
	v_fma_f64 v[232:233], v[42:43], s[20:21], v[232:233]
	v_add_f64 v[34:35], v[234:235], v[34:35]
	v_mul_f64 v[234:235], v[204:205], s[42:43]
	v_add_f64 v[36:37], v[232:233], v[36:37]
	v_fma_f64 v[232:233], v[44:45], s[20:21], -v[234:235]
	v_fma_f64 v[236:237], v[44:45], s[20:21], v[234:235]
	v_add_f64 v[0:1], v[232:233], v[0:1]
	v_mul_f64 v[232:233], v[206:207], s[40:41]
	v_add_f64 v[236:237], v[236:237], v[240:241]
	v_fma_f64 v[234:235], v[42:43], s[24:25], -v[232:233]
	v_fma_f64 v[232:233], v[42:43], s[24:25], v[232:233]
	v_add_f64 v[18:19], v[234:235], v[18:19]
	v_mul_f64 v[234:235], v[204:205], s[40:41]
	v_add_f64 v[8:9], v[232:233], v[8:9]
	v_fma_f64 v[232:233], v[44:45], s[24:25], -v[234:235]
	v_fma_f64 v[238:239], v[44:45], s[24:25], v[234:235]
	v_add_f64 v[10:11], v[232:233], v[10:11]
	v_mul_f64 v[232:233], v[206:207], s[16:17]
	v_mul_f64 v[206:207], v[206:207], s[26:27]
	v_add_f64 v[6:7], v[238:239], v[6:7]
	v_fma_f64 v[234:235], v[42:43], s[14:15], -v[232:233]
	v_fma_f64 v[232:233], v[42:43], s[14:15], v[232:233]
	v_add_f64 v[32:33], v[234:235], v[32:33]
	v_mul_f64 v[234:235], v[204:205], s[16:17]
	v_add_f64 v[46:47], v[232:233], v[46:47]
	v_mul_f64 v[204:205], v[204:205], s[26:27]
	v_fma_f64 v[238:239], v[44:45], s[14:15], v[234:235]
	v_fma_f64 v[232:233], v[44:45], s[14:15], -v[234:235]
	v_fma_f64 v[234:235], v[42:43], s[28:29], -v[206:207]
	v_fma_f64 v[42:43], v[42:43], s[28:29], v[206:207]
	v_add_f64 v[206:207], v[224:225], -v[228:229]
	v_add_f64 v[238:239], v[238:239], v[244:245]
	v_add_f64 v[232:233], v[232:233], v[242:243]
	;; [unrolled: 1-line block ×4, first 2 shown]
	v_fma_f64 v[42:43], v[44:45], s[28:29], -v[204:205]
	v_fma_f64 v[234:235], v[44:45], s[28:29], v[204:205]
	v_add_f64 v[44:45], v[224:225], v[228:229]
	v_mul_f64 v[224:225], v[206:207], s[18:19]
	v_add_f64 v[204:205], v[226:227], -v[230:231]
	v_add_f64 v[40:41], v[42:43], v[40:41]
	v_add_f64 v[42:43], v[226:227], v[230:231]
	;; [unrolled: 1-line block ×3, first 2 shown]
	v_fma_f64 v[226:227], v[42:43], s[20:21], -v[224:225]
	v_fma_f64 v[224:225], v[42:43], s[20:21], v[224:225]
	v_add_f64 v[2:3], v[226:227], v[2:3]
	v_mul_f64 v[226:227], v[204:205], s[18:19]
	v_add_f64 v[14:15], v[224:225], v[14:15]
	v_fma_f64 v[224:225], v[44:45], s[20:21], -v[226:227]
	v_fma_f64 v[228:229], v[44:45], s[20:21], v[226:227]
	v_add_f64 v[16:17], v[224:225], v[16:17]
	v_mul_f64 v[224:225], v[206:207], s[38:39]
	v_add_f64 v[12:13], v[228:229], v[12:13]
	;; [unrolled: 5-line block ×6, first 2 shown]
	v_add_f64 v[236:237], v[208:209], v[210:211]
	v_add_f64 v[208:209], v[208:209], -v[210:211]
	v_fma_f64 v[226:227], v[42:43], s[12:13], -v[224:225]
	v_fma_f64 v[224:225], v[42:43], s[12:13], v[224:225]
	v_add_f64 v[18:19], v[226:227], v[18:19]
	v_mul_f64 v[226:227], v[204:205], s[4:5]
	v_add_f64 v[8:9], v[224:225], v[8:9]
	v_fma_f64 v[224:225], v[44:45], s[12:13], -v[226:227]
	v_fma_f64 v[230:231], v[44:45], s[12:13], v[226:227]
	v_add_f64 v[10:11], v[224:225], v[10:11]
	v_mul_f64 v[224:225], v[206:207], s[46:47]
	v_mul_f64 v[206:207], v[206:207], s[44:45]
	v_add_f64 v[6:7], v[230:231], v[6:7]
	v_fma_f64 v[226:227], v[42:43], s[34:35], -v[224:225]
	v_fma_f64 v[224:225], v[42:43], s[34:35], v[224:225]
	v_add_f64 v[32:33], v[226:227], v[32:33]
	v_mul_f64 v[226:227], v[204:205], s[46:47]
	v_add_f64 v[46:47], v[224:225], v[46:47]
	v_mul_f64 v[204:205], v[204:205], s[44:45]
	v_fma_f64 v[230:231], v[44:45], s[34:35], v[226:227]
	v_fma_f64 v[224:225], v[44:45], s[34:35], -v[226:227]
	v_fma_f64 v[226:227], v[42:43], s[14:15], -v[206:207]
	v_fma_f64 v[42:43], v[42:43], s[14:15], v[206:207]
	v_add_f64 v[206:207], v[216:217], -v[218:219]
	v_add_f64 v[230:231], v[230:231], v[238:239]
	v_add_f64 v[224:225], v[224:225], v[232:233]
	;; [unrolled: 1-line block ×4, first 2 shown]
	v_fma_f64 v[42:43], v[44:45], s[14:15], -v[204:205]
	v_fma_f64 v[226:227], v[44:45], s[14:15], v[204:205]
	v_add_f64 v[44:45], v[216:217], v[218:219]
	v_mul_f64 v[216:217], v[206:207], s[26:27]
	v_add_f64 v[204:205], v[220:221], -v[222:223]
	v_add_f64 v[40:41], v[42:43], v[40:41]
	v_add_f64 v[42:43], v[220:221], v[222:223]
	;; [unrolled: 1-line block ×3, first 2 shown]
	v_fma_f64 v[218:219], v[42:43], s[28:29], -v[216:217]
	v_fma_f64 v[216:217], v[42:43], s[28:29], v[216:217]
	v_add_f64 v[2:3], v[218:219], v[2:3]
	v_mul_f64 v[218:219], v[204:205], s[26:27]
	v_add_f64 v[14:15], v[216:217], v[14:15]
	v_fma_f64 v[216:217], v[44:45], s[28:29], -v[218:219]
	v_fma_f64 v[220:221], v[44:45], s[28:29], v[218:219]
	v_add_f64 v[16:17], v[216:217], v[16:17]
	v_mul_f64 v[216:217], v[206:207], s[36:37]
	v_add_f64 v[12:13], v[220:221], v[12:13]
	v_fma_f64 v[218:219], v[42:43], s[12:13], -v[216:217]
	v_fma_f64 v[216:217], v[42:43], s[12:13], v[216:217]
	v_add_f64 v[30:31], v[218:219], v[30:31]
	v_mul_f64 v[218:219], v[204:205], s[36:37]
	v_add_f64 v[26:27], v[216:217], v[26:27]
	v_fma_f64 v[216:217], v[44:45], s[12:13], -v[218:219]
	v_fma_f64 v[220:221], v[44:45], s[12:13], v[218:219]
	v_add_f64 v[28:29], v[216:217], v[28:29]
	v_mul_f64 v[216:217], v[206:207], s[16:17]
	v_add_f64 v[24:25], v[220:221], v[24:25]
	v_fma_f64 v[218:219], v[42:43], s[14:15], -v[216:217]
	v_fma_f64 v[216:217], v[42:43], s[14:15], v[216:217]
	v_add_f64 v[34:35], v[218:219], v[34:35]
	v_mul_f64 v[218:219], v[204:205], s[16:17]
	v_add_f64 v[36:37], v[216:217], v[36:37]
	v_fma_f64 v[216:217], v[44:45], s[14:15], -v[218:219]
	v_fma_f64 v[220:221], v[44:45], s[14:15], v[218:219]
	v_add_f64 v[216:217], v[216:217], v[0:1]
	v_mul_f64 v[0:1], v[206:207], s[46:47]
	v_add_f64 v[220:221], v[220:221], v[228:229]
	v_fma_f64 v[218:219], v[42:43], s[34:35], -v[0:1]
	v_fma_f64 v[0:1], v[42:43], s[34:35], v[0:1]
	v_add_f64 v[218:219], v[218:219], v[18:19]
	v_mul_f64 v[18:19], v[204:205], s[46:47]
	v_add_f64 v[226:227], v[0:1], v[8:9]
	v_fma_f64 v[0:1], v[44:45], s[34:35], -v[18:19]
	v_fma_f64 v[222:223], v[44:45], s[34:35], v[18:19]
	v_add_f64 v[228:229], v[0:1], v[10:11]
	v_mul_f64 v[0:1], v[206:207], s[40:41]
	v_add_f64 v[222:223], v[222:223], v[6:7]
	v_fma_f64 v[6:7], v[42:43], s[24:25], -v[0:1]
	v_fma_f64 v[0:1], v[42:43], s[24:25], v[0:1]
	v_add_f64 v[32:33], v[6:7], v[32:33]
	v_mul_f64 v[6:7], v[204:205], s[40:41]
	v_add_f64 v[46:47], v[0:1], v[46:47]
	v_fma_f64 v[0:1], v[44:45], s[24:25], -v[6:7]
	v_fma_f64 v[8:9], v[44:45], s[24:25], v[6:7]
	v_add_f64 v[224:225], v[0:1], v[224:225]
	v_mul_f64 v[0:1], v[206:207], s[18:19]
	v_add_f64 v[230:231], v[8:9], v[230:231]
	v_fma_f64 v[6:7], v[42:43], s[20:21], -v[0:1]
	v_fma_f64 v[0:1], v[42:43], s[20:21], v[0:1]
	v_add_f64 v[232:233], v[6:7], v[20:21]
	v_mul_f64 v[6:7], v[204:205], s[18:19]
	v_add_f64 v[42:43], v[0:1], v[4:5]
	v_mul_f64 v[4:5], v[208:209], s[30:31]
	v_mul_f64 v[20:21], v[208:209], s[26:27]
	v_fma_f64 v[8:9], v[44:45], s[20:21], v[6:7]
	v_fma_f64 v[0:1], v[44:45], s[20:21], -v[6:7]
	v_add_f64 v[44:45], v[212:213], v[214:215]
	v_add_f64 v[212:213], v[212:213], -v[214:215]
	v_add_f64 v[234:235], v[8:9], v[22:23]
	v_add_f64 v[40:41], v[0:1], v[40:41]
	v_fma_f64 v[0:1], v[44:45], s[34:35], -v[4:5]
	v_mul_f64 v[6:7], v[212:213], s[30:31]
	v_mul_f64 v[206:207], v[212:213], s[18:19]
	v_fma_f64 v[4:5], v[44:45], s[34:35], v[4:5]
	v_mul_f64 v[22:23], v[212:213], s[26:27]
	v_add_f64 v[0:1], v[0:1], v[2:3]
	v_fma_f64 v[2:3], v[236:237], s[34:35], v[6:7]
	v_fma_f64 v[6:7], v[236:237], s[34:35], -v[6:7]
	v_add_f64 v[4:5], v[4:5], v[14:15]
	v_mul_f64 v[14:15], v[212:213], s[40:41]
	v_fma_f64 v[18:19], v[236:237], s[28:29], v[22:23]
	v_fma_f64 v[22:23], v[236:237], s[28:29], -v[22:23]
	v_add_f64 v[2:3], v[2:3], v[12:13]
	v_add_f64 v[6:7], v[6:7], v[16:17]
	v_fma_f64 v[16:17], v[44:45], s[28:29], -v[20:21]
	v_fma_f64 v[20:21], v[44:45], s[28:29], v[20:21]
	v_mul_f64 v[12:13], v[208:209], s[40:41]
	v_fma_f64 v[10:11], v[236:237], s[24:25], v[14:15]
	v_fma_f64 v[14:15], v[236:237], s[24:25], -v[14:15]
	v_add_f64 v[18:19], v[18:19], v[220:221]
	v_add_f64 v[22:23], v[22:23], v[216:217]
	v_add_f64 v[16:17], v[16:17], v[34:35]
	v_add_f64 v[20:21], v[20:21], v[36:37]
	v_mul_f64 v[36:37], v[208:209], s[18:19]
	v_fma_f64 v[8:9], v[44:45], s[24:25], -v[12:13]
	v_fma_f64 v[12:13], v[44:45], s[24:25], v[12:13]
	v_add_f64 v[14:15], v[14:15], v[28:29]
	v_mul_f64 v[28:29], v[208:209], s[44:45]
	v_add_f64 v[10:11], v[10:11], v[24:25]
	v_fma_f64 v[34:35], v[44:45], s[20:21], -v[36:37]
	v_fma_f64 v[36:37], v[44:45], s[20:21], v[36:37]
	v_add_f64 v[8:9], v[8:9], v[30:31]
	v_mul_f64 v[30:31], v[212:213], s[44:45]
	v_add_f64 v[12:13], v[12:13], v[26:27]
	v_fma_f64 v[24:25], v[44:45], s[14:15], -v[28:29]
	v_fma_f64 v[28:29], v[44:45], s[14:15], v[28:29]
	v_add_f64 v[32:33], v[34:35], v[32:33]
	v_add_f64 v[204:205], v[36:37], v[46:47]
	v_fma_f64 v[36:37], v[236:237], s[20:21], -v[206:207]
	v_fma_f64 v[34:35], v[236:237], s[20:21], v[206:207]
	v_fma_f64 v[26:27], v[236:237], s[14:15], v[30:31]
	v_fma_f64 v[30:31], v[236:237], s[14:15], -v[30:31]
	v_add_f64 v[24:25], v[24:25], v[218:219]
	v_add_f64 v[28:29], v[28:29], v[226:227]
	;; [unrolled: 1-line block ×3, first 2 shown]
	v_mul_f64 v[36:37], v[208:209], s[36:37]
	v_add_f64 v[26:27], v[26:27], v[222:223]
	v_add_f64 v[34:35], v[34:35], v[230:231]
	;; [unrolled: 1-line block ×3, first 2 shown]
	v_fma_f64 v[46:47], v[44:45], s[12:13], -v[36:37]
	v_fma_f64 v[36:37], v[44:45], s[12:13], v[36:37]
	v_add_f64 v[208:209], v[46:47], v[232:233]
	v_mul_f64 v[46:47], v[212:213], s[36:37]
	v_add_f64 v[212:213], v[36:37], v[42:43]
	v_fma_f64 v[210:211], v[236:237], s[12:13], v[46:47]
	v_fma_f64 v[36:37], v[236:237], s[12:13], -v[46:47]
	v_add_f64 v[210:211], v[210:211], v[234:235]
	v_add_f64 v[214:215], v[36:37], v[40:41]
	ds_write_b128 v38, v[200:203]
	ds_write_b128 v38, v[0:3] offset:2496
	ds_write_b128 v38, v[8:11] offset:4992
	;; [unrolled: 1-line block ×12, first 2 shown]
	v_add_co_u32_e64 v12, s[2:3], s2, v255
	v_addc_co_u32_e64 v13, s[2:3], 0, v39, s[2:3]
	s_movk_i32 s2, 0x7000
	v_add_co_u32_e64 v4, s[2:3], s2, v255
	v_addc_co_u32_e64 v5, s[2:3], 0, v39, s[2:3]
	s_waitcnt lgkmcnt(0)
	s_barrier
	global_load_dwordx4 v[4:7], v[4:5], off offset:3776
	ds_read_b128 v[0:3], v38
	s_mov_b32 s2, 0x9000
	s_waitcnt vmcnt(0) lgkmcnt(0)
	v_mul_f64 v[8:9], v[2:3], v[6:7]
	v_fma_f64 v[8:9], v[0:1], v[4:5], -v[8:9]
	v_mul_f64 v[0:1], v[0:1], v[6:7]
	v_fma_f64 v[10:11], v[2:3], v[4:5], v[0:1]
	global_load_dwordx4 v[4:7], v[12:13], off offset:2496
	ds_read_b128 v[0:3], v38 offset:2496
	v_add_co_u32_e64 v12, s[2:3], s2, v255
	v_addc_co_u32_e64 v13, s[2:3], 0, v39, s[2:3]
	s_mov_b32 s2, 0xa000
	ds_write_b128 v38, v[8:11]
	s_waitcnt vmcnt(0) lgkmcnt(1)
	v_mul_f64 v[8:9], v[2:3], v[6:7]
	v_fma_f64 v[8:9], v[0:1], v[4:5], -v[8:9]
	v_mul_f64 v[0:1], v[0:1], v[6:7]
	v_fma_f64 v[10:11], v[2:3], v[4:5], v[0:1]
	global_load_dwordx4 v[4:7], v[12:13], off offset:576
	ds_read_b128 v[0:3], v38 offset:4992
	ds_write_b128 v38, v[8:11] offset:2496
	s_waitcnt vmcnt(0) lgkmcnt(1)
	v_mul_f64 v[8:9], v[2:3], v[6:7]
	v_fma_f64 v[8:9], v[0:1], v[4:5], -v[8:9]
	v_mul_f64 v[0:1], v[0:1], v[6:7]
	v_fma_f64 v[10:11], v[2:3], v[4:5], v[0:1]
	global_load_dwordx4 v[4:7], v[12:13], off offset:3072
	ds_read_b128 v[0:3], v38 offset:7488
	v_add_co_u32_e64 v12, s[2:3], s2, v255
	v_addc_co_u32_e64 v13, s[2:3], 0, v39, s[2:3]
	s_mov_b32 s2, 0xb000
	ds_write_b128 v38, v[8:11] offset:4992
	s_waitcnt vmcnt(0) lgkmcnt(1)
	v_mul_f64 v[8:9], v[2:3], v[6:7]
	v_fma_f64 v[8:9], v[0:1], v[4:5], -v[8:9]
	v_mul_f64 v[0:1], v[0:1], v[6:7]
	v_fma_f64 v[10:11], v[2:3], v[4:5], v[0:1]
	global_load_dwordx4 v[4:7], v[12:13], off offset:1472
	ds_read_b128 v[0:3], v38 offset:9984
	ds_write_b128 v38, v[8:11] offset:7488
	s_waitcnt vmcnt(0) lgkmcnt(1)
	v_mul_f64 v[8:9], v[2:3], v[6:7]
	v_fma_f64 v[8:9], v[0:1], v[4:5], -v[8:9]
	v_mul_f64 v[0:1], v[0:1], v[6:7]
	v_fma_f64 v[10:11], v[2:3], v[4:5], v[0:1]
	global_load_dwordx4 v[4:7], v[12:13], off offset:3968
	ds_read_b128 v[0:3], v38 offset:12480
	ds_write_b128 v38, v[8:11] offset:9984
	s_waitcnt vmcnt(0) lgkmcnt(1)
	v_mul_f64 v[8:9], v[2:3], v[6:7]
	v_fma_f64 v[8:9], v[0:1], v[4:5], -v[8:9]
	v_mul_f64 v[0:1], v[0:1], v[6:7]
	v_fma_f64 v[10:11], v[2:3], v[4:5], v[0:1]
	v_add_co_u32_e64 v4, s[2:3], s2, v255
	v_addc_co_u32_e64 v5, s[2:3], 0, v39, s[2:3]
	global_load_dwordx4 v[4:7], v[4:5], off offset:2368
	ds_read_b128 v[0:3], v38 offset:14976
	s_mov_b32 s2, 0xc000
	ds_write_b128 v38, v[8:11] offset:12480
	v_add_co_u32_e64 v12, s[2:3], s2, v255
	v_addc_co_u32_e64 v13, s[2:3], 0, v39, s[2:3]
	s_mov_b32 s2, 0xd000
	s_waitcnt vmcnt(0) lgkmcnt(1)
	v_mul_f64 v[8:9], v[2:3], v[6:7]
	v_fma_f64 v[8:9], v[0:1], v[4:5], -v[8:9]
	v_mul_f64 v[0:1], v[0:1], v[6:7]
	v_fma_f64 v[10:11], v[2:3], v[4:5], v[0:1]
	global_load_dwordx4 v[4:7], v[12:13], off offset:768
	ds_read_b128 v[0:3], v38 offset:17472
	ds_write_b128 v38, v[8:11] offset:14976
	s_waitcnt vmcnt(0) lgkmcnt(1)
	v_mul_f64 v[8:9], v[2:3], v[6:7]
	v_fma_f64 v[8:9], v[0:1], v[4:5], -v[8:9]
	v_mul_f64 v[0:1], v[0:1], v[6:7]
	v_fma_f64 v[10:11], v[2:3], v[4:5], v[0:1]
	global_load_dwordx4 v[4:7], v[12:13], off offset:3264
	ds_read_b128 v[0:3], v38 offset:19968
	ds_write_b128 v38, v[8:11] offset:17472
	s_waitcnt vmcnt(0) lgkmcnt(1)
	v_mul_f64 v[8:9], v[2:3], v[6:7]
	v_fma_f64 v[8:9], v[0:1], v[4:5], -v[8:9]
	v_mul_f64 v[0:1], v[0:1], v[6:7]
	v_fma_f64 v[10:11], v[2:3], v[4:5], v[0:1]
	v_add_co_u32_e64 v4, s[2:3], s2, v255
	v_addc_co_u32_e64 v5, s[2:3], 0, v39, s[2:3]
	global_load_dwordx4 v[4:7], v[4:5], off offset:1664
	ds_read_b128 v[0:3], v38 offset:22464
	s_mov_b32 s2, 0xe000
	ds_write_b128 v38, v[8:11] offset:19968
	v_add_co_u32_e64 v12, s[2:3], s2, v255
	v_addc_co_u32_e64 v13, s[2:3], 0, v39, s[2:3]
	s_mov_b32 s2, 0xf000
	s_waitcnt vmcnt(0) lgkmcnt(1)
	v_mul_f64 v[8:9], v[2:3], v[6:7]
	v_fma_f64 v[8:9], v[0:1], v[4:5], -v[8:9]
	v_mul_f64 v[0:1], v[0:1], v[6:7]
	v_fma_f64 v[10:11], v[2:3], v[4:5], v[0:1]
	global_load_dwordx4 v[4:7], v[12:13], off offset:64
	ds_read_b128 v[0:3], v38 offset:24960
	ds_write_b128 v38, v[8:11] offset:22464
	s_waitcnt vmcnt(0) lgkmcnt(1)
	v_mul_f64 v[8:9], v[2:3], v[6:7]
	v_fma_f64 v[8:9], v[0:1], v[4:5], -v[8:9]
	v_mul_f64 v[0:1], v[0:1], v[6:7]
	v_fma_f64 v[10:11], v[2:3], v[4:5], v[0:1]
	global_load_dwordx4 v[4:7], v[12:13], off offset:2560
	ds_read_b128 v[0:3], v38 offset:27456
	ds_write_b128 v38, v[8:11] offset:24960
	s_waitcnt vmcnt(0) lgkmcnt(1)
	v_mul_f64 v[8:9], v[2:3], v[6:7]
	v_fma_f64 v[8:9], v[0:1], v[4:5], -v[8:9]
	v_mul_f64 v[0:1], v[0:1], v[6:7]
	v_fma_f64 v[10:11], v[2:3], v[4:5], v[0:1]
	v_add_co_u32_e64 v4, s[2:3], s2, v255
	v_addc_co_u32_e64 v5, s[2:3], 0, v39, s[2:3]
	global_load_dwordx4 v[4:7], v[4:5], off offset:960
	ds_read_b128 v[0:3], v38 offset:29952
	ds_write_b128 v38, v[8:11] offset:27456
	s_waitcnt vmcnt(0) lgkmcnt(1)
	v_mul_f64 v[8:9], v[2:3], v[6:7]
	v_fma_f64 v[8:9], v[0:1], v[4:5], -v[8:9]
	v_mul_f64 v[0:1], v[0:1], v[6:7]
	v_fma_f64 v[10:11], v[2:3], v[4:5], v[0:1]
	ds_write_b128 v38, v[8:11] offset:29952
	s_waitcnt lgkmcnt(0)
	s_barrier
	ds_read_b128 v[244:247], v38
	ds_read_b128 v[0:3], v38 offset:2496
	ds_read_b128 v[236:239], v38 offset:4992
	;; [unrolled: 1-line block ×12, first 2 shown]
	s_waitcnt lgkmcnt(11)
	v_add_f64 v[10:11], v[246:247], v[2:3]
	v_add_f64 v[8:9], v[244:245], v[0:1]
	s_waitcnt lgkmcnt(0)
	s_barrier
	v_add_f64 v[10:11], v[10:11], v[238:239]
	v_add_f64 v[8:9], v[8:9], v[236:237]
	;; [unrolled: 1-line block ×24, first 2 shown]
	v_add_f64 v[0:1], v[0:1], -v[4:5]
	v_add_f64 v[2:3], v[2:3], -v[6:7]
	v_mul_f64 v[12:13], v[10:11], s[24:25]
	v_mul_f64 v[20:21], v[10:11], s[14:15]
	;; [unrolled: 1-line block ×8, first 2 shown]
	v_fma_f64 v[14:15], v[0:1], s[40:41], v[12:13]
	v_fma_f64 v[12:13], v[0:1], s[22:23], v[12:13]
	;; [unrolled: 1-line block ×4, first 2 shown]
	v_mul_f64 v[24:25], v[2:3], s[4:5]
	v_fma_f64 v[30:31], v[0:1], s[36:37], v[28:29]
	v_fma_f64 v[28:29], v[0:1], s[4:5], v[28:29]
	v_mul_f64 v[32:33], v[2:3], s[18:19]
	v_fma_f64 v[39:40], v[0:1], s[42:43], v[36:37]
	v_fma_f64 v[36:37], v[0:1], s[18:19], v[36:37]
	;; [unrolled: 3-line block ×4, first 2 shown]
	v_add_f64 v[10:11], v[238:239], v[242:243]
	v_add_f64 v[238:239], v[238:239], -v[242:243]
	v_fma_f64 v[6:7], v[8:9], s[24:25], v[4:5]
	v_fma_f64 v[4:5], v[8:9], s[24:25], -v[4:5]
	v_fma_f64 v[18:19], v[8:9], s[14:15], v[16:17]
	v_fma_f64 v[16:17], v[8:9], s[14:15], -v[16:17]
	;; [unrolled: 2-line block ×6, first 2 shown]
	v_add_f64 v[8:9], v[236:237], v[240:241]
	v_add_f64 v[236:237], v[236:237], -v[240:241]
	v_mul_f64 v[240:241], v[238:239], s[16:17]
	v_add_f64 v[6:7], v[244:245], v[6:7]
	v_add_f64 v[4:5], v[244:245], v[4:5]
	;; [unrolled: 1-line block ×7, first 2 shown]
	v_fma_f64 v[242:243], v[8:9], s[14:15], v[240:241]
	v_fma_f64 v[240:241], v[8:9], s[14:15], -v[240:241]
	v_add_f64 v[34:35], v[244:245], v[34:35]
	v_add_f64 v[32:33], v[244:245], v[32:33]
	;; [unrolled: 1-line block ×7, first 2 shown]
	v_mul_f64 v[242:243], v[10:11], s[14:15]
	v_add_f64 v[4:5], v[240:241], v[4:5]
	v_add_f64 v[20:21], v[246:247], v[20:21]
	;; [unrolled: 1-line block ×7, first 2 shown]
	v_fma_f64 v[240:241], v[236:237], s[16:17], v[242:243]
	v_fma_f64 v[244:245], v[236:237], s[44:45], v[242:243]
	v_add_f64 v[45:46], v[246:247], v[45:46]
	v_add_f64 v[39:40], v[246:247], v[39:40]
	v_add_f64 v[0:1], v[246:247], v[0:1]
	v_add_f64 v[253:254], v[246:247], v[253:254]
	v_add_f64 v[248:249], v[246:247], v[248:249]
	v_add_f64 v[12:13], v[240:241], v[12:13]
	v_mul_f64 v[240:241], v[238:239], s[18:19]
	v_add_f64 v[14:15], v[244:245], v[14:15]
	v_fma_f64 v[242:243], v[8:9], s[20:21], v[240:241]
	v_fma_f64 v[240:241], v[8:9], s[20:21], -v[240:241]
	v_add_f64 v[18:19], v[242:243], v[18:19]
	v_mul_f64 v[242:243], v[10:11], s[20:21]
	v_add_f64 v[16:17], v[240:241], v[16:17]
	v_fma_f64 v[240:241], v[236:237], s[18:19], v[242:243]
	v_fma_f64 v[244:245], v[236:237], s[42:43], v[242:243]
	v_add_f64 v[20:21], v[240:241], v[20:21]
	v_mul_f64 v[240:241], v[238:239], s[30:31]
	v_add_f64 v[22:23], v[244:245], v[22:23]
	v_fma_f64 v[242:243], v[8:9], s[34:35], v[240:241]
	v_fma_f64 v[240:241], v[8:9], s[34:35], -v[240:241]
	v_add_f64 v[26:27], v[242:243], v[26:27]
	v_mul_f64 v[242:243], v[10:11], s[34:35]
	v_add_f64 v[24:25], v[240:241], v[24:25]
	v_fma_f64 v[240:241], v[236:237], s[30:31], v[242:243]
	v_fma_f64 v[244:245], v[236:237], s[46:47], v[242:243]
	v_add_f64 v[28:29], v[240:241], v[28:29]
	v_mul_f64 v[240:241], v[238:239], s[38:39]
	v_add_f64 v[30:31], v[244:245], v[30:31]
	v_fma_f64 v[242:243], v[8:9], s[28:29], v[240:241]
	v_fma_f64 v[240:241], v[8:9], s[28:29], -v[240:241]
	v_add_f64 v[34:35], v[242:243], v[34:35]
	v_mul_f64 v[242:243], v[10:11], s[28:29]
	v_add_f64 v[32:33], v[240:241], v[32:33]
	v_fma_f64 v[240:241], v[236:237], s[38:39], v[242:243]
	v_fma_f64 v[244:245], v[236:237], s[26:27], v[242:243]
	v_add_f64 v[36:37], v[240:241], v[36:37]
	v_mul_f64 v[240:241], v[238:239], s[36:37]
	v_mul_f64 v[238:239], v[238:239], s[40:41]
	v_add_f64 v[39:40], v[244:245], v[39:40]
	v_fma_f64 v[242:243], v[8:9], s[12:13], v[240:241]
	v_fma_f64 v[240:241], v[8:9], s[12:13], -v[240:241]
	v_add_f64 v[43:44], v[242:243], v[43:44]
	v_mul_f64 v[242:243], v[10:11], s[12:13]
	v_add_f64 v[41:42], v[240:241], v[41:42]
	v_mul_f64 v[10:11], v[10:11], s[24:25]
	v_fma_f64 v[240:241], v[236:237], s[36:37], v[242:243]
	v_fma_f64 v[244:245], v[236:237], s[4:5], v[242:243]
	v_fma_f64 v[242:243], v[236:237], s[22:23], v[10:11]
	v_add_f64 v[45:46], v[240:241], v[45:46]
	v_fma_f64 v[240:241], v[8:9], s[24:25], v[238:239]
	v_fma_f64 v[8:9], v[8:9], s[24:25], -v[238:239]
	v_add_f64 v[242:243], v[242:243], v[253:254]
	v_add_f64 v[244:245], v[244:245], v[248:249]
	v_add_f64 v[240:241], v[240:241], v[250:251]
	v_add_f64 v[2:3], v[8:9], v[2:3]
	v_fma_f64 v[8:9], v[236:237], s[40:41], v[10:11]
	v_add_f64 v[10:11], v[230:231], v[234:235]
	v_add_f64 v[230:231], v[230:231], -v[234:235]
	v_add_f64 v[0:1], v[8:9], v[0:1]
	v_add_f64 v[8:9], v[228:229], v[232:233]
	v_add_f64 v[228:229], v[228:229], -v[232:233]
	v_mul_f64 v[232:233], v[230:231], s[4:5]
	v_fma_f64 v[234:235], v[8:9], s[12:13], v[232:233]
	v_fma_f64 v[232:233], v[8:9], s[12:13], -v[232:233]
	v_add_f64 v[6:7], v[234:235], v[6:7]
	v_mul_f64 v[234:235], v[10:11], s[12:13]
	v_add_f64 v[4:5], v[232:233], v[4:5]
	v_fma_f64 v[232:233], v[228:229], s[4:5], v[234:235]
	v_fma_f64 v[236:237], v[228:229], s[36:37], v[234:235]
	v_add_f64 v[12:13], v[232:233], v[12:13]
	v_mul_f64 v[232:233], v[230:231], s[30:31]
	v_add_f64 v[14:15], v[236:237], v[14:15]
	v_fma_f64 v[234:235], v[8:9], s[34:35], v[232:233]
	v_fma_f64 v[232:233], v[8:9], s[34:35], -v[232:233]
	v_add_f64 v[18:19], v[234:235], v[18:19]
	v_mul_f64 v[234:235], v[10:11], s[34:35]
	v_add_f64 v[16:17], v[232:233], v[16:17]
	v_fma_f64 v[232:233], v[228:229], s[30:31], v[234:235]
	v_fma_f64 v[236:237], v[228:229], s[46:47], v[234:235]
	v_add_f64 v[20:21], v[232:233], v[20:21]
	v_mul_f64 v[232:233], v[230:231], s[42:43]
	v_add_f64 v[22:23], v[236:237], v[22:23]
	v_fma_f64 v[234:235], v[8:9], s[20:21], v[232:233]
	v_fma_f64 v[232:233], v[8:9], s[20:21], -v[232:233]
	v_add_f64 v[26:27], v[234:235], v[26:27]
	v_mul_f64 v[234:235], v[10:11], s[20:21]
	v_add_f64 v[24:25], v[232:233], v[24:25]
	v_fma_f64 v[232:233], v[228:229], s[42:43], v[234:235]
	v_fma_f64 v[236:237], v[228:229], s[18:19], v[234:235]
	v_add_f64 v[28:29], v[232:233], v[28:29]
	v_mul_f64 v[232:233], v[230:231], s[40:41]
	v_add_f64 v[30:31], v[236:237], v[30:31]
	v_fma_f64 v[234:235], v[8:9], s[24:25], v[232:233]
	v_fma_f64 v[232:233], v[8:9], s[24:25], -v[232:233]
	v_add_f64 v[34:35], v[234:235], v[34:35]
	v_mul_f64 v[234:235], v[10:11], s[24:25]
	v_add_f64 v[32:33], v[232:233], v[32:33]
	v_fma_f64 v[232:233], v[228:229], s[40:41], v[234:235]
	v_fma_f64 v[236:237], v[228:229], s[22:23], v[234:235]
	v_add_f64 v[36:37], v[232:233], v[36:37]
	v_mul_f64 v[232:233], v[230:231], s[16:17]
	v_mul_f64 v[230:231], v[230:231], s[26:27]
	v_add_f64 v[39:40], v[236:237], v[39:40]
	v_fma_f64 v[234:235], v[8:9], s[14:15], v[232:233]
	v_fma_f64 v[232:233], v[8:9], s[14:15], -v[232:233]
	v_add_f64 v[43:44], v[234:235], v[43:44]
	v_mul_f64 v[234:235], v[10:11], s[14:15]
	v_add_f64 v[41:42], v[232:233], v[41:42]
	v_mul_f64 v[10:11], v[10:11], s[28:29]
	v_fma_f64 v[232:233], v[228:229], s[16:17], v[234:235]
	v_fma_f64 v[236:237], v[228:229], s[44:45], v[234:235]
	v_fma_f64 v[234:235], v[228:229], s[38:39], v[10:11]
	v_add_f64 v[45:46], v[232:233], v[45:46]
	v_fma_f64 v[232:233], v[8:9], s[28:29], v[230:231]
	v_fma_f64 v[8:9], v[8:9], s[28:29], -v[230:231]
	v_add_f64 v[234:235], v[234:235], v[242:243]
	v_add_f64 v[236:237], v[236:237], v[244:245]
	v_add_f64 v[232:233], v[232:233], v[240:241]
	v_add_f64 v[2:3], v[8:9], v[2:3]
	v_fma_f64 v[8:9], v[228:229], s[26:27], v[10:11]
	v_add_f64 v[10:11], v[222:223], v[226:227]
	v_add_f64 v[222:223], v[222:223], -v[226:227]
	v_add_f64 v[0:1], v[8:9], v[0:1]
	v_add_f64 v[8:9], v[220:221], v[224:225]
	v_add_f64 v[220:221], v[220:221], -v[224:225]
	v_mul_f64 v[224:225], v[222:223], s[18:19]
	v_fma_f64 v[226:227], v[8:9], s[20:21], v[224:225]
	v_fma_f64 v[224:225], v[8:9], s[20:21], -v[224:225]
	v_add_f64 v[6:7], v[226:227], v[6:7]
	v_mul_f64 v[226:227], v[10:11], s[20:21]
	v_add_f64 v[4:5], v[224:225], v[4:5]
	v_fma_f64 v[224:225], v[220:221], s[18:19], v[226:227]
	v_fma_f64 v[228:229], v[220:221], s[42:43], v[226:227]
	v_add_f64 v[12:13], v[224:225], v[12:13]
	;; [unrolled: 64-line block ×3, first 2 shown]
	v_mul_f64 v[216:217], v[214:215], s[36:37]
	v_add_f64 v[14:15], v[220:221], v[14:15]
	v_fma_f64 v[218:219], v[8:9], s[12:13], v[216:217]
	v_fma_f64 v[216:217], v[8:9], s[12:13], -v[216:217]
	v_add_f64 v[18:19], v[218:219], v[18:19]
	v_mul_f64 v[218:219], v[10:11], s[12:13]
	v_add_f64 v[16:17], v[216:217], v[16:17]
	v_fma_f64 v[216:217], v[212:213], s[36:37], v[218:219]
	v_fma_f64 v[220:221], v[212:213], s[4:5], v[218:219]
	v_add_f64 v[20:21], v[216:217], v[20:21]
	v_mul_f64 v[216:217], v[214:215], s[16:17]
	v_add_f64 v[22:23], v[220:221], v[22:23]
	v_fma_f64 v[218:219], v[8:9], s[14:15], v[216:217]
	v_fma_f64 v[216:217], v[8:9], s[14:15], -v[216:217]
	v_add_f64 v[26:27], v[218:219], v[26:27]
	v_mul_f64 v[218:219], v[10:11], s[14:15]
	v_add_f64 v[24:25], v[216:217], v[24:25]
	v_fma_f64 v[216:217], v[212:213], s[16:17], v[218:219]
	v_fma_f64 v[220:221], v[212:213], s[44:45], v[218:219]
	v_add_f64 v[28:29], v[216:217], v[28:29]
	;; [unrolled: 10-line block ×3, first 2 shown]
	v_mul_f64 v[216:217], v[214:215], s[40:41]
	v_mul_f64 v[214:215], v[214:215], s[18:19]
	v_add_f64 v[39:40], v[220:221], v[39:40]
	v_fma_f64 v[218:219], v[8:9], s[24:25], v[216:217]
	v_fma_f64 v[216:217], v[8:9], s[24:25], -v[216:217]
	v_add_f64 v[43:44], v[218:219], v[43:44]
	v_mul_f64 v[218:219], v[10:11], s[24:25]
	v_add_f64 v[41:42], v[216:217], v[41:42]
	v_mul_f64 v[10:11], v[10:11], s[20:21]
	v_fma_f64 v[216:217], v[212:213], s[40:41], v[218:219]
	v_fma_f64 v[220:221], v[212:213], s[22:23], v[218:219]
	;; [unrolled: 1-line block ×3, first 2 shown]
	v_add_f64 v[45:46], v[216:217], v[45:46]
	v_fma_f64 v[216:217], v[8:9], s[20:21], v[214:215]
	v_fma_f64 v[8:9], v[8:9], s[20:21], -v[214:215]
	v_add_f64 v[218:219], v[218:219], v[226:227]
	v_add_f64 v[226:227], v[204:205], -v[208:209]
	v_add_f64 v[220:221], v[220:221], v[228:229]
	v_add_f64 v[216:217], v[216:217], v[224:225]
	;; [unrolled: 1-line block ×3, first 2 shown]
	v_fma_f64 v[2:3], v[212:213], s[18:19], v[10:11]
	v_add_f64 v[212:213], v[204:205], v[208:209]
	v_add_f64 v[208:209], v[206:207], -v[210:211]
	v_add_f64 v[224:225], v[206:207], v[210:211]
	v_add_f64 v[222:223], v[2:3], v[0:1]
	v_mul_f64 v[8:9], v[208:209], s[30:31]
	v_mul_f64 v[10:11], v[224:225], s[24:25]
	v_fma_f64 v[0:1], v[212:213], s[34:35], v[8:9]
	v_fma_f64 v[8:9], v[212:213], s[34:35], -v[8:9]
	v_add_f64 v[0:1], v[0:1], v[6:7]
	v_mul_f64 v[6:7], v[224:225], s[34:35]
	v_add_f64 v[204:205], v[8:9], v[4:5]
	v_mul_f64 v[8:9], v[208:209], s[40:41]
	v_fma_f64 v[4:5], v[226:227], s[30:31], v[6:7]
	v_fma_f64 v[2:3], v[226:227], s[46:47], v[6:7]
	;; [unrolled: 1-line block ×4, first 2 shown]
	v_add_f64 v[206:207], v[4:5], v[12:13]
	v_fma_f64 v[4:5], v[212:213], s[24:25], v[8:9]
	v_fma_f64 v[8:9], v[212:213], s[24:25], -v[8:9]
	v_add_f64 v[6:7], v[6:7], v[22:23]
	v_add_f64 v[10:11], v[10:11], v[20:21]
	v_add_f64 v[2:3], v[2:3], v[14:15]
	v_add_f64 v[4:5], v[4:5], v[18:19]
	v_add_f64 v[8:9], v[8:9], v[16:17]
	v_mul_f64 v[16:17], v[208:209], s[26:27]
	v_mul_f64 v[18:19], v[224:225], s[28:29]
	v_fma_f64 v[12:13], v[212:213], s[28:29], v[16:17]
	v_fma_f64 v[16:17], v[212:213], s[28:29], -v[16:17]
	v_fma_f64 v[14:15], v[226:227], s[38:39], v[18:19]
	v_fma_f64 v[18:19], v[226:227], s[26:27], v[18:19]
	v_add_f64 v[12:13], v[12:13], v[26:27]
	v_mul_f64 v[26:27], v[224:225], s[14:15]
	v_add_f64 v[16:17], v[16:17], v[24:25]
	v_mul_f64 v[24:25], v[208:209], s[44:45]
	v_add_f64 v[18:19], v[18:19], v[28:29]
	v_add_f64 v[14:15], v[14:15], v[30:31]
	v_fma_f64 v[22:23], v[226:227], s[16:17], v[26:27]
	v_fma_f64 v[26:27], v[226:227], s[44:45], v[26:27]
	;; [unrolled: 1-line block ×3, first 2 shown]
	v_fma_f64 v[24:25], v[212:213], s[14:15], -v[24:25]
	v_add_f64 v[22:23], v[22:23], v[39:40]
	v_add_f64 v[26:27], v[26:27], v[36:37]
	v_mul_f64 v[36:37], v[208:209], s[36:37]
	v_add_f64 v[24:25], v[24:25], v[32:33]
	v_mul_f64 v[32:33], v[208:209], s[18:19]
	;; [unrolled: 2-line block ×3, first 2 shown]
	v_fma_f64 v[39:40], v[212:213], s[12:13], v[36:37]
	v_fma_f64 v[36:37], v[212:213], s[12:13], -v[36:37]
	v_fma_f64 v[28:29], v[212:213], s[20:21], v[32:33]
	v_fma_f64 v[32:33], v[212:213], s[20:21], -v[32:33]
	v_fma_f64 v[30:31], v[226:227], s[42:43], v[34:35]
	v_fma_f64 v[34:35], v[226:227], s[18:19], v[34:35]
	v_add_f64 v[208:209], v[39:40], v[216:217]
	v_mul_f64 v[39:40], v[224:225], s[12:13]
	v_add_f64 v[212:213], v[36:37], v[214:215]
	v_add_f64 v[32:33], v[32:33], v[41:42]
	;; [unrolled: 1-line block ×5, first 2 shown]
	v_fma_f64 v[41:42], v[226:227], s[4:5], v[39:40]
	v_fma_f64 v[36:37], v[226:227], s[36:37], v[39:40]
	v_add_f64 v[210:211], v[41:42], v[218:219]
	v_add_f64 v[214:215], v[36:37], v[222:223]
	ds_write_b128 v252, v[200:203]
	ds_write_b128 v252, v[0:3] offset:16
	ds_write_b128 v252, v[4:7] offset:32
	;; [unrolled: 1-line block ×12, first 2 shown]
	s_waitcnt lgkmcnt(0)
	s_barrier
	ds_read_b128 v[212:215], v38
	ds_read_b128 v[248:251], v38 offset:8112
	ds_read_b128 v[244:247], v38 offset:16224
	;; [unrolled: 1-line block ×11, first 2 shown]
	s_and_saveexec_b64 s[2:3], s[0:1]
	s_cbranch_execz .LBB0_11
; %bb.10:
	ds_read_b128 v[204:207], v38 offset:7488
	ds_read_b128 v[196:199], v38 offset:15600
	;; [unrolled: 1-line block ×4, first 2 shown]
.LBB0_11:
	s_or_b64 exec, exec, s[2:3]
	s_waitcnt lgkmcnt(6)
	v_mul_f64 v[12:13], v[126:127], v[242:243]
	s_waitcnt lgkmcnt(0)
	s_barrier
	v_mul_f64 v[0:1], v[138:139], v[250:251]
	v_mul_f64 v[2:3], v[138:139], v[248:249]
	;; [unrolled: 1-line block ×4, first 2 shown]
	v_fma_f64 v[16:17], v[124:125], v[240:241], v[12:13]
	v_mul_f64 v[12:13], v[126:127], v[240:241]
	v_mul_f64 v[8:9], v[130:131], v[238:239]
	;; [unrolled: 1-line block ×3, first 2 shown]
	v_fma_f64 v[0:1], v[136:137], v[248:249], v[0:1]
	v_fma_f64 v[2:3], v[136:137], v[250:251], -v[2:3]
	v_fma_f64 v[4:5], v[132:133], v[244:245], v[4:5]
	v_fma_f64 v[6:7], v[132:133], v[246:247], -v[6:7]
	v_fma_f64 v[18:19], v[124:125], v[242:243], -v[12:13]
	v_mul_f64 v[12:13], v[94:95], v[234:235]
	v_fma_f64 v[8:9], v[128:129], v[236:237], v[8:9]
	v_fma_f64 v[10:11], v[128:129], v[238:239], -v[10:11]
	v_add_f64 v[14:15], v[214:215], -v[6:7]
	v_fma_f64 v[20:21], v[92:93], v[232:233], v[12:13]
	v_mul_f64 v[12:13], v[94:95], v[232:233]
	v_add_f64 v[28:29], v[0:1], -v[8:9]
	v_add_f64 v[8:9], v[2:3], -v[10:11]
	v_fma_f64 v[6:7], v[214:215], 2.0, -v[14:15]
	v_fma_f64 v[22:23], v[92:93], v[234:235], -v[12:13]
	v_mul_f64 v[12:13], v[78:79], v[230:231]
	v_fma_f64 v[0:1], v[0:1], 2.0, -v[28:29]
	v_fma_f64 v[2:3], v[2:3], 2.0, -v[8:9]
	v_add_f64 v[10:11], v[14:15], -v[28:29]
	v_add_f64 v[28:29], v[208:209], -v[20:21]
	;; [unrolled: 1-line block ×3, first 2 shown]
	v_fma_f64 v[24:25], v[76:77], v[228:229], v[12:13]
	v_mul_f64 v[12:13], v[78:79], v[228:229]
	v_add_f64 v[2:3], v[6:7], -v[2:3]
	v_fma_f64 v[14:15], v[14:15], 2.0, -v[10:11]
	v_fma_f64 v[20:21], v[208:209], 2.0, -v[28:29]
	;; [unrolled: 1-line block ×3, first 2 shown]
	v_fma_f64 v[26:27], v[76:77], v[230:231], -v[12:13]
	v_mul_f64 v[12:13], v[118:119], v[226:227]
	v_fma_f64 v[6:7], v[6:7], 2.0, -v[2:3]
	v_fma_f64 v[32:33], v[116:117], v[224:225], v[12:13]
	v_mul_f64 v[12:13], v[118:119], v[224:225]
	v_fma_f64 v[34:35], v[116:117], v[226:227], -v[12:13]
	v_mul_f64 v[12:13], v[114:115], v[222:223]
	v_fma_f64 v[36:37], v[112:113], v[220:221], v[12:13]
	v_mul_f64 v[12:13], v[114:115], v[220:221]
	v_add_f64 v[36:37], v[200:201], -v[36:37]
	v_fma_f64 v[39:40], v[112:113], v[222:223], -v[12:13]
	v_mul_f64 v[12:13], v[106:107], v[218:219]
	v_add_f64 v[39:40], v[202:203], -v[39:40]
	v_fma_f64 v[41:42], v[104:105], v[216:217], v[12:13]
	v_mul_f64 v[12:13], v[106:107], v[216:217]
	v_fma_f64 v[92:93], v[202:203], 2.0, -v[39:40]
	v_add_f64 v[41:42], v[32:33], -v[41:42]
	v_fma_f64 v[43:44], v[104:105], v[218:219], -v[12:13]
	v_mul_f64 v[12:13], v[102:103], v[198:199]
	v_add_f64 v[106:107], v[39:40], -v[41:42]
	v_add_f64 v[43:44], v[34:35], -v[43:44]
	v_fma_f64 v[45:46], v[100:101], v[196:197], v[12:13]
	v_mul_f64 v[12:13], v[102:103], v[196:197]
	v_fma_f64 v[32:33], v[32:33], 2.0, -v[41:42]
	v_fma_f64 v[114:115], v[39:40], 2.0, -v[106:107]
	;; [unrolled: 1-line block ×3, first 2 shown]
	v_add_f64 v[104:105], v[36:37], v[43:44]
	v_fma_f64 v[76:77], v[100:101], v[198:199], -v[12:13]
	v_mul_f64 v[12:13], v[90:91], v[194:195]
	v_add_f64 v[34:35], v[92:93], -v[34:35]
	v_fma_f64 v[112:113], v[36:37], 2.0, -v[104:105]
	v_fma_f64 v[78:79], v[88:89], v[192:193], v[12:13]
	v_mul_f64 v[12:13], v[90:91], v[192:193]
	v_fma_f64 v[102:103], v[92:93], 2.0, -v[34:35]
	v_fma_f64 v[88:89], v[88:89], v[194:195], -v[12:13]
	v_mul_f64 v[12:13], v[86:87], v[142:143]
	v_add_f64 v[39:40], v[206:207], -v[88:89]
	v_fma_f64 v[90:91], v[84:85], v[140:141], v[12:13]
	v_mul_f64 v[12:13], v[86:87], v[140:141]
	v_add_f64 v[86:87], v[16:17], -v[24:25]
	v_add_f64 v[24:25], v[18:19], -v[26:27]
	v_fma_f64 v[43:44], v[206:207], 2.0, -v[39:40]
	v_add_f64 v[88:89], v[45:46], -v[90:91]
	v_fma_f64 v[84:85], v[84:85], v[142:143], -v[12:13]
	v_fma_f64 v[16:17], v[16:17], 2.0, -v[86:87]
	v_add_f64 v[26:27], v[30:31], -v[86:87]
	v_fma_f64 v[86:87], v[200:201], 2.0, -v[36:37]
	v_add_f64 v[36:37], v[204:205], -v[78:79]
	v_add_f64 v[12:13], v[212:213], -v[4:5]
	v_fma_f64 v[18:19], v[18:19], 2.0, -v[24:25]
	v_fma_f64 v[45:46], v[45:46], 2.0, -v[88:89]
	v_add_f64 v[90:91], v[76:77], -v[84:85]
	v_add_f64 v[94:95], v[39:40], -v[88:89]
	;; [unrolled: 1-line block ×3, first 2 shown]
	v_add_f64 v[24:25], v[28:29], v[24:25]
	v_fma_f64 v[41:42], v[204:205], 2.0, -v[36:37]
	v_fma_f64 v[4:5], v[212:213], 2.0, -v[12:13]
	v_add_f64 v[8:9], v[12:13], v[8:9]
	v_add_f64 v[18:19], v[22:23], -v[18:19]
	v_add_f64 v[92:93], v[36:37], v[90:91]
	v_fma_f64 v[30:31], v[30:31], 2.0, -v[26:27]
	v_fma_f64 v[20:21], v[20:21], 2.0, -v[16:17]
	;; [unrolled: 1-line block ×3, first 2 shown]
	v_add_f64 v[32:33], v[86:87], -v[32:33]
	v_add_f64 v[0:1], v[4:5], -v[0:1]
	v_fma_f64 v[12:13], v[12:13], 2.0, -v[8:9]
	v_fma_f64 v[22:23], v[22:23], 2.0, -v[18:19]
	;; [unrolled: 1-line block ×3, first 2 shown]
	buffer_load_dword v36, off, s[48:51], 0 offset:212 ; 4-byte Folded Reload
	v_fma_f64 v[76:77], v[76:77], 2.0, -v[90:91]
	v_add_f64 v[84:85], v[41:42], -v[45:46]
	v_fma_f64 v[100:101], v[86:87], 2.0, -v[32:33]
	v_fma_f64 v[4:5], v[4:5], 2.0, -v[0:1]
	;; [unrolled: 1-line block ×3, first 2 shown]
	s_waitcnt vmcnt(0)
	ds_write_b128 v36, v[4:7]
	ds_write_b128 v36, v[12:15] offset:208
	ds_write_b128 v36, v[0:3] offset:416
	ds_write_b128 v36, v[8:11] offset:624
	buffer_load_dword v0, off, s[48:51], 0 offset:216 ; 4-byte Folded Reload
	v_add_f64 v[86:87], v[43:44], -v[76:77]
	v_fma_f64 v[76:77], v[41:42], 2.0, -v[84:85]
	s_waitcnt vmcnt(0)
	ds_write_b128 v0, v[20:23]
	ds_write_b128 v0, v[28:31] offset:208
	ds_write_b128 v0, v[16:19] offset:416
	;; [unrolled: 1-line block ×3, first 2 shown]
	buffer_load_dword v0, off, s[48:51], 0 offset:220 ; 4-byte Folded Reload
	v_fma_f64 v[78:79], v[43:44], 2.0, -v[86:87]
	s_waitcnt vmcnt(0)
	ds_write_b128 v0, v[100:103]
	ds_write_b128 v0, v[112:115] offset:208
	ds_write_b128 v0, v[32:35] offset:416
	ds_write_b128 v0, v[104:107] offset:624
	s_and_saveexec_b64 s[2:3], s[0:1]
	s_cbranch_execz .LBB0_13
; %bb.12:
	buffer_load_dword v0, off, s[48:51], 0 offset:204 ; 4-byte Folded Reload
	buffer_load_dword v1, off, s[48:51], 0 offset:208 ; 4-byte Folded Reload
	s_waitcnt vmcnt(0)
	v_mad_legacy_u16 v0, v0, 52, v1
	v_lshlrev_b32_e32 v0, 4, v0
	ds_write_b128 v0, v[76:79]
	ds_write_b128 v0, v[88:91] offset:208
	ds_write_b128 v0, v[84:87] offset:416
	;; [unrolled: 1-line block ×3, first 2 shown]
.LBB0_13:
	s_or_b64 exec, exec, s[2:3]
	s_waitcnt lgkmcnt(0)
	s_barrier
	ds_read_b128 v[112:115], v38
	ds_read_b128 v[104:107], v38 offset:2496
	ds_read_b128 v[196:199], v38 offset:10816
	;; [unrolled: 1-line block ×11, first 2 shown]
	s_and_saveexec_b64 s[0:1], vcc
	s_cbranch_execz .LBB0_15
; %bb.14:
	ds_read_b128 v[76:79], v38 offset:9984
	ds_read_b128 v[88:91], v38 offset:20800
	;; [unrolled: 1-line block ×3, first 2 shown]
.LBB0_15:
	s_or_b64 exec, exec, s[0:1]
	s_waitcnt lgkmcnt(9)
	v_mul_f64 v[0:1], v[66:67], v[198:199]
	s_waitcnt lgkmcnt(8)
	v_mul_f64 v[8:9], v[74:75], v[142:143]
	v_mul_f64 v[2:3], v[66:67], v[196:197]
	s_waitcnt lgkmcnt(7)
	v_mul_f64 v[4:5], v[58:59], v[194:195]
	;; [unrolled: 3-line block ×4, first 2 shown]
	v_fma_f64 v[14:15], v[64:65], v[196:197], v[0:1]
	v_mul_f64 v[0:1], v[70:71], v[132:133]
	v_fma_f64 v[20:21], v[72:73], v[140:141], v[8:9]
	s_waitcnt lgkmcnt(1)
	v_mul_f64 v[8:9], v[82:83], v[130:131]
	v_fma_f64 v[2:3], v[64:65], v[198:199], -v[2:3]
	v_fma_f64 v[16:17], v[56:57], v[192:193], v[4:5]
	v_fma_f64 v[6:7], v[56:57], v[194:195], -v[6:7]
	v_fma_f64 v[12:13], v[68:69], v[132:133], v[12:13]
	s_waitcnt lgkmcnt(0)
	v_mul_f64 v[28:29], v[110:111], v[116:117]
	v_fma_f64 v[24:25], v[68:69], v[134:135], -v[0:1]
	v_mul_f64 v[0:1], v[82:83], v[128:129]
	v_fma_f64 v[34:35], v[80:81], v[128:129], v[8:9]
	v_mul_f64 v[8:9], v[110:111], v[118:119]
	v_mul_f64 v[4:5], v[98:99], v[138:139]
	v_fma_f64 v[22:23], v[72:73], v[142:143], -v[10:11]
	v_fma_f64 v[30:31], v[96:97], v[138:139], -v[18:19]
	v_mul_f64 v[10:11], v[122:123], v[124:125]
	v_add_f64 v[18:19], v[14:15], v[16:17]
	v_fma_f64 v[36:37], v[80:81], v[130:131], -v[0:1]
	v_add_f64 v[0:1], v[112:113], v[14:15]
	v_fma_f64 v[43:44], v[108:109], v[116:117], v[8:9]
	v_fma_f64 v[45:46], v[108:109], v[118:119], -v[28:29]
	v_add_f64 v[8:9], v[2:3], v[6:7]
	v_add_f64 v[28:29], v[20:21], v[12:13]
	v_fma_f64 v[26:27], v[96:97], v[136:137], v[4:5]
	v_mul_f64 v[4:5], v[122:123], v[126:127]
	v_fma_f64 v[41:42], v[120:121], v[126:127], -v[10:11]
	v_fma_f64 v[10:11], v[18:19], -0.5, v[112:113]
	v_add_f64 v[18:19], v[2:3], -v[6:7]
	v_add_f64 v[0:1], v[0:1], v[16:17]
	v_add_f64 v[2:3], v[114:115], v[2:3]
	v_fma_f64 v[32:33], v[8:9], -0.5, v[114:115]
	v_add_f64 v[14:15], v[14:15], -v[16:17]
	v_add_f64 v[16:17], v[22:23], v[24:25]
	v_fma_f64 v[28:29], v[28:29], -0.5, v[104:105]
	v_add_f64 v[56:57], v[22:23], -v[24:25]
	s_mov_b32 s0, 0xe8584caa
	s_mov_b32 s1, 0xbfebb67a
	;; [unrolled: 1-line block ×4, first 2 shown]
	v_fma_f64 v[39:40], v[120:121], v[124:125], v[4:5]
	v_fma_f64 v[4:5], v[18:19], s[0:1], v[10:11]
	;; [unrolled: 1-line block ×3, first 2 shown]
	v_add_f64 v[2:3], v[2:3], v[6:7]
	v_add_f64 v[18:19], v[104:105], v[20:21]
	v_fma_f64 v[6:7], v[14:15], s[2:3], v[32:33]
	v_fma_f64 v[10:11], v[14:15], s[0:1], v[32:33]
	v_add_f64 v[14:15], v[106:107], v[22:23]
	v_fma_f64 v[22:23], v[16:17], -0.5, v[106:107]
	v_add_f64 v[32:33], v[20:21], -v[12:13]
	v_fma_f64 v[16:17], v[56:57], s[0:1], v[28:29]
	v_add_f64 v[64:65], v[100:101], v[26:27]
	v_add_f64 v[66:67], v[30:31], -v[36:37]
	v_fma_f64 v[20:21], v[56:57], s[2:3], v[28:29]
	v_add_f64 v[56:57], v[30:31], v[36:37]
	v_add_f64 v[30:31], v[102:103], v[30:31]
	;; [unrolled: 1-line block ×5, first 2 shown]
	v_add_f64 v[34:35], v[26:27], -v[34:35]
	s_barrier
	v_add_f64 v[26:27], v[30:31], v[36:37]
	buffer_load_dword v36, off, s[48:51], 0 offset:228 ; 4-byte Folded Reload
	v_add_f64 v[12:13], v[18:19], v[12:13]
	v_fma_f64 v[18:19], v[32:33], s[2:3], v[22:23]
	v_fma_f64 v[22:23], v[32:33], s[0:1], v[22:23]
	v_fma_f64 v[58:59], v[58:59], -0.5, v[100:101]
	v_fma_f64 v[56:57], v[56:57], -0.5, v[102:103]
	v_add_f64 v[64:65], v[39:40], v[43:44]
	v_add_f64 v[70:71], v[41:42], -v[45:46]
	s_waitcnt vmcnt(0)
	ds_write_b128 v36, v[0:3]
	ds_write_b128 v36, v[4:7] offset:832
	ds_write_b128 v36, v[8:11] offset:1664
	buffer_load_dword v0, off, s[48:51], 0 offset:232 ; 4-byte Folded Reload
	v_fma_f64 v[28:29], v[66:67], s[0:1], v[58:59]
	v_fma_f64 v[30:31], v[34:35], s[2:3], v[56:57]
	;; [unrolled: 1-line block ×4, first 2 shown]
	v_add_f64 v[58:59], v[41:42], v[45:46]
	v_add_f64 v[66:67], v[92:93], v[39:40]
	v_add_f64 v[41:42], v[94:95], v[41:42]
	v_fma_f64 v[68:69], v[64:65], -0.5, v[92:93]
	v_add_f64 v[39:40], v[39:40], -v[43:44]
	s_waitcnt vmcnt(0)
	ds_write_b128 v0, v[12:15]
	ds_write_b128 v0, v[16:19] offset:832
	ds_write_b128 v0, v[20:23] offset:1664
	buffer_load_dword v0, off, s[48:51], 0 offset:236 ; 4-byte Folded Reload
	v_fma_f64 v[72:73], v[58:59], -0.5, v[94:95]
	v_add_f64 v[56:57], v[66:67], v[43:44]
	v_add_f64 v[58:59], v[41:42], v[45:46]
	v_fma_f64 v[64:65], v[70:71], s[0:1], v[68:69]
	v_fma_f64 v[68:69], v[70:71], s[2:3], v[68:69]
	s_waitcnt vmcnt(0)
	ds_write_b128 v0, v[24:27]
	ds_write_b128 v0, v[28:31] offset:832
	ds_write_b128 v0, v[32:35] offset:1664
	buffer_load_dword v0, off, s[48:51], 0 offset:240 ; 4-byte Folded Reload
	v_fma_f64 v[66:67], v[39:40], s[2:3], v[72:73]
	v_fma_f64 v[70:71], v[39:40], s[0:1], v[72:73]
	s_waitcnt vmcnt(0)
	ds_write_b128 v0, v[56:59]
	ds_write_b128 v0, v[64:67] offset:832
	ds_write_b128 v0, v[68:71] offset:1664
	s_and_saveexec_b64 s[4:5], vcc
	s_cbranch_execz .LBB0_17
; %bb.16:
	v_mul_f64 v[0:1], v[62:63], v[88:89]
	v_mul_f64 v[2:3], v[54:55], v[84:85]
	;; [unrolled: 1-line block ×4, first 2 shown]
	v_fma_f64 v[0:1], v[60:61], v[90:91], -v[0:1]
	v_fma_f64 v[2:3], v[52:53], v[86:87], -v[2:3]
	v_fma_f64 v[4:5], v[60:61], v[88:89], v[4:5]
	v_fma_f64 v[6:7], v[52:53], v[84:85], v[6:7]
	v_add_f64 v[14:15], v[78:79], v[0:1]
	v_add_f64 v[8:9], v[2:3], v[0:1]
	v_add_f64 v[16:17], v[0:1], -v[2:3]
	v_add_f64 v[10:11], v[6:7], v[4:5]
	v_add_f64 v[12:13], v[4:5], -v[6:7]
	v_add_f64 v[4:5], v[76:77], v[4:5]
	v_add_f64 v[2:3], v[2:3], v[14:15]
	v_fma_f64 v[8:9], v[8:9], -0.5, v[78:79]
	v_fma_f64 v[18:19], v[10:11], -0.5, v[76:77]
	v_add_f64 v[0:1], v[6:7], v[4:5]
	v_fma_f64 v[6:7], v[12:13], s[0:1], v[8:9]
	v_fma_f64 v[10:11], v[12:13], s[2:3], v[8:9]
	buffer_load_dword v12, off, s[48:51], 0 offset:224 ; 4-byte Folded Reload
	v_fma_f64 v[8:9], v[16:17], s[0:1], v[18:19]
	v_fma_f64 v[4:5], v[16:17], s[2:3], v[18:19]
	s_waitcnt vmcnt(0)
	ds_write_b128 v12, v[0:3] offset:29952
	ds_write_b128 v12, v[8:11] offset:30784
	;; [unrolled: 1-line block ×3, first 2 shown]
.LBB0_17:
	s_or_b64 exec, exec, s[4:5]
	s_waitcnt lgkmcnt(0)
	s_barrier
	ds_read_b128 v[0:3], v38 offset:2496
	ds_read_b128 v[4:7], v38 offset:4992
	ds_read_b128 v[16:19], v38
	ds_read_b128 v[8:11], v38 offset:7488
	s_mov_b32 s0, 0xe00740e9
	s_mov_b32 s1, 0x3fec55a7
	s_waitcnt lgkmcnt(2)
	v_mul_f64 v[22:23], v[166:167], v[4:5]
	v_mul_f64 v[14:15], v[174:175], v[0:1]
	;; [unrolled: 1-line block ×4, first 2 shown]
	s_waitcnt lgkmcnt(0)
	v_mul_f64 v[26:27], v[158:159], v[8:9]
	v_mul_f64 v[24:25], v[158:159], v[10:11]
	s_mov_b32 s4, 0x4267c47c
	s_mov_b32 s5, 0xbfddbe06
	v_fma_f64 v[43:44], v[164:165], v[6:7], -v[22:23]
	v_fma_f64 v[39:40], v[172:173], v[2:3], -v[14:15]
	v_fma_f64 v[36:37], v[172:173], v[0:1], v[12:13]
	ds_read_b128 v[0:3], v38 offset:9984
	ds_read_b128 v[12:15], v38 offset:12480
	v_fma_f64 v[41:42], v[164:165], v[4:5], v[20:21]
	v_fma_f64 v[60:61], v[156:157], v[10:11], -v[26:27]
	v_fma_f64 v[45:46], v[156:157], v[8:9], v[24:25]
	s_waitcnt lgkmcnt(1)
	v_mul_f64 v[34:35], v[154:155], v[0:1]
	v_mul_f64 v[32:33], v[154:155], v[2:3]
	v_add_f64 v[30:31], v[18:19], v[39:40]
	v_add_f64 v[28:29], v[16:17], v[36:37]
	s_waitcnt lgkmcnt(0)
	v_mul_f64 v[64:65], v[186:187], v[12:13]
	ds_read_b128 v[4:7], v38 offset:14976
	ds_read_b128 v[20:23], v38 offset:17472
	v_mul_f64 v[62:63], v[186:187], v[14:15]
	s_mov_b32 s25, 0x3fddbe06
	v_fma_f64 v[68:69], v[152:153], v[2:3], -v[34:35]
	v_fma_f64 v[66:67], v[152:153], v[0:1], v[32:33]
	v_add_f64 v[10:11], v[30:31], v[43:44]
	v_add_f64 v[8:9], v[28:29], v[41:42]
	s_waitcnt lgkmcnt(1)
	v_mul_f64 v[72:73], v[162:163], v[4:5]
	v_mul_f64 v[70:71], v[162:163], v[6:7]
	ds_read_b128 v[24:27], v38 offset:19968
	ds_read_b128 v[28:31], v38 offset:22464
	ds_read_b128 v[32:35], v38 offset:24960
	ds_read_b128 v[52:55], v38 offset:27456
	ds_read_b128 v[56:59], v38 offset:29952
	s_mov_b32 s24, s4
	s_mov_b32 s2, 0x66966769
	v_add_f64 v[2:3], v[10:11], v[60:61]
	v_add_f64 v[0:1], v[8:9], v[45:46]
	v_fma_f64 v[10:11], v[184:185], v[14:15], -v[64:65]
	v_fma_f64 v[8:9], v[184:185], v[12:13], v[62:63]
	s_waitcnt lgkmcnt(5)
	v_mul_f64 v[64:65], v[150:151], v[20:21]
	v_mul_f64 v[62:63], v[150:151], v[22:23]
	s_waitcnt lgkmcnt(0)
	v_mul_f64 v[74:75], v[182:183], v[56:57]
	v_mul_f64 v[76:77], v[178:179], v[34:35]
	v_add_f64 v[14:15], v[2:3], v[68:69]
	v_add_f64 v[12:13], v[0:1], v[66:67]
	v_fma_f64 v[2:3], v[160:161], v[6:7], -v[72:73]
	v_fma_f64 v[0:1], v[160:161], v[4:5], v[70:71]
	v_mul_f64 v[72:73], v[146:147], v[24:25]
	v_fma_f64 v[6:7], v[148:149], v[22:23], -v[64:65]
	v_mul_f64 v[70:71], v[146:147], v[26:27]
	v_fma_f64 v[4:5], v[148:149], v[20:21], v[62:63]
	v_add_f64 v[14:15], v[14:15], v[10:11]
	v_add_f64 v[12:13], v[12:13], v[8:9]
	v_mul_f64 v[64:65], v[190:191], v[28:29]
	v_mul_f64 v[62:63], v[190:191], v[30:31]
	s_mov_b32 s22, 0x2ef20147
	s_mov_b32 s30, 0x24c2f84
	;; [unrolled: 1-line block ×4, first 2 shown]
	v_add_f64 v[22:23], v[14:15], v[2:3]
	v_add_f64 v[20:21], v[12:13], v[0:1]
	v_fma_f64 v[14:15], v[144:145], v[26:27], -v[72:73]
	v_fma_f64 v[12:13], v[144:145], v[24:25], v[70:71]
	v_mul_f64 v[24:25], v[182:183], v[58:59]
	v_mul_f64 v[26:27], v[178:179], v[32:33]
	v_fma_f64 v[58:59], v[180:181], v[58:59], -v[74:75]
	v_fma_f64 v[30:31], v[188:189], v[30:31], -v[64:65]
	v_add_f64 v[22:23], v[22:23], v[6:7]
	v_add_f64 v[20:21], v[20:21], v[4:5]
	v_fma_f64 v[28:29], v[188:189], v[28:29], v[62:63]
	v_mul_f64 v[70:71], v[170:171], v[54:55]
	v_fma_f64 v[24:25], v[180:181], v[56:57], v[24:25]
	v_mul_f64 v[56:57], v[170:171], v[52:53]
	v_add_f64 v[62:63], v[39:40], -v[58:59]
	v_add_f64 v[39:40], v[39:40], v[58:59]
	v_add_f64 v[22:23], v[22:23], v[14:15]
	;; [unrolled: 1-line block ×3, first 2 shown]
	v_fma_f64 v[26:27], v[176:177], v[34:35], -v[26:27]
	v_fma_f64 v[32:33], v[176:177], v[32:33], v[76:77]
	v_add_f64 v[34:35], v[36:37], v[24:25]
	v_add_f64 v[36:37], v[36:37], -v[24:25]
	v_fma_f64 v[56:57], v[168:169], v[54:55], -v[56:57]
	v_mul_f64 v[72:73], v[39:40], s[0:1]
	v_add_f64 v[22:23], v[22:23], v[30:31]
	v_add_f64 v[20:21], v[20:21], v[28:29]
	v_mul_f64 v[64:65], v[62:63], s[4:5]
	v_fma_f64 v[70:71], v[168:169], v[52:53], v[70:71]
	s_mov_b32 s3, 0xbfefc445
	s_mov_b32 s23, 0xbfedeba7
	;; [unrolled: 1-line block ×3, first 2 shown]
	v_fma_f64 v[54:55], v[36:37], s[24:25], v[72:73]
	v_add_f64 v[22:23], v[22:23], v[26:27]
	v_add_f64 v[20:21], v[20:21], v[32:33]
	s_mov_b32 s35, 0xbfe7f3cc
	s_mov_b32 s39, 0xbfcea1e5
	v_fma_f64 v[52:53], v[34:35], s[0:1], v[64:65]
	v_fma_f64 v[72:73], v[36:37], s[4:5], v[72:73]
	v_mul_f64 v[74:75], v[62:63], s[16:17]
	v_add_f64 v[78:79], v[18:19], v[54:55]
	v_add_f64 v[22:23], v[22:23], v[56:57]
	v_add_f64 v[20:21], v[20:21], v[70:71]
	v_mul_f64 v[86:87], v[62:63], s[22:23]
	v_mul_f64 v[92:93], v[62:63], s[30:31]
	;; [unrolled: 1-line block ×3, first 2 shown]
	v_add_f64 v[102:103], v[43:44], v[56:57]
	v_add_f64 v[43:44], v[43:44], -v[56:57]
	s_mov_b32 s18, 0x1ea71119
	v_add_f64 v[54:55], v[22:23], v[58:59]
	v_mul_f64 v[58:59], v[62:63], s[2:3]
	v_mul_f64 v[62:63], v[62:63], s[38:39]
	s_mov_b32 s26, 0xb2365da1
	s_mov_b32 s40, 0x93053d00
	;; [unrolled: 1-line block ×7, first 2 shown]
	v_fma_f64 v[64:65], v[34:35], s[0:1], -v[64:65]
	v_add_f64 v[76:77], v[16:17], v[52:53]
	v_add_f64 v[52:53], v[20:21], v[24:25]
	;; [unrolled: 1-line block ×3, first 2 shown]
	v_fma_f64 v[22:23], v[34:35], s[18:19], v[74:75]
	v_mul_f64 v[24:25], v[39:40], s[18:19]
	v_mul_f64 v[72:73], v[39:40], s[12:13]
	v_fma_f64 v[74:75], v[34:35], s[18:19], -v[74:75]
	v_fma_f64 v[82:83], v[34:35], s[12:13], v[58:59]
	v_fma_f64 v[58:59], v[34:35], s[12:13], -v[58:59]
	v_fma_f64 v[88:89], v[34:35], s[26:27], v[86:87]
	v_mul_f64 v[90:91], v[39:40], s[26:27]
	v_fma_f64 v[86:87], v[34:35], s[26:27], -v[86:87]
	v_fma_f64 v[98:99], v[34:35], s[34:35], v[92:93]
	v_fma_f64 v[100:101], v[36:37], s[36:37], v[94:95]
	v_fma_f64 v[92:93], v[34:35], s[34:35], -v[92:93]
	v_fma_f64 v[94:95], v[36:37], s[30:31], v[94:95]
	v_mul_f64 v[39:40], v[39:40], s[40:41]
	v_fma_f64 v[56:57], v[34:35], s[40:41], v[62:63]
	v_add_f64 v[104:105], v[41:42], v[70:71]
	v_add_f64 v[41:42], v[41:42], -v[70:71]
	v_mul_f64 v[70:71], v[43:44], s[16:17]
	v_mul_f64 v[106:107], v[102:103], s[18:19]
	v_fma_f64 v[34:35], v[34:35], s[40:41], -v[62:63]
	s_mov_b32 s21, 0x3fea55e2
	s_mov_b32 s20, s16
	;; [unrolled: 1-line block ×8, first 2 shown]
	v_add_f64 v[64:65], v[16:17], v[64:65]
	v_fma_f64 v[80:81], v[36:37], s[20:21], v[24:25]
	v_add_f64 v[22:23], v[16:17], v[22:23]
	v_fma_f64 v[24:25], v[36:37], s[16:17], v[24:25]
	v_fma_f64 v[84:85], v[36:37], s[14:15], v[72:73]
	v_add_f64 v[74:75], v[16:17], v[74:75]
	v_add_f64 v[82:83], v[16:17], v[82:83]
	v_fma_f64 v[72:73], v[36:37], s[2:3], v[72:73]
	v_fma_f64 v[96:97], v[36:37], s[28:29], v[90:91]
	;; [unrolled: 1-line block ×3, first 2 shown]
	v_add_f64 v[58:59], v[16:17], v[58:59]
	v_add_f64 v[88:89], v[16:17], v[88:89]
	;; [unrolled: 1-line block ×4, first 2 shown]
	v_fma_f64 v[108:109], v[36:37], s[42:43], v[39:40]
	v_fma_f64 v[36:37], v[36:37], s[38:39], v[39:40]
	v_add_f64 v[39:40], v[16:17], v[92:93]
	v_add_f64 v[62:63], v[18:19], v[94:95]
	v_fma_f64 v[92:93], v[104:105], s[18:19], v[70:71]
	v_fma_f64 v[94:95], v[41:42], s[20:21], v[106:107]
	v_add_f64 v[56:57], v[16:17], v[56:57]
	v_add_f64 v[16:17], v[16:17], v[34:35]
	v_mul_f64 v[34:35], v[43:44], s[22:23]
	v_add_f64 v[80:81], v[18:19], v[80:81]
	v_add_f64 v[24:25], v[18:19], v[24:25]
	;; [unrolled: 1-line block ×9, first 2 shown]
	v_mul_f64 v[36:37], v[102:103], s[26:27]
	v_add_f64 v[76:77], v[92:93], v[76:77]
	v_add_f64 v[78:79], v[94:95], v[78:79]
	v_fma_f64 v[70:71], v[104:105], s[18:19], -v[70:71]
	v_fma_f64 v[92:93], v[41:42], s[16:17], v[106:107]
	v_mul_f64 v[94:95], v[43:44], s[38:39]
	v_mul_f64 v[106:107], v[102:103], s[40:41]
	v_fma_f64 v[110:111], v[104:105], s[26:27], v[34:35]
	v_fma_f64 v[34:35], v[104:105], s[26:27], -v[34:35]
	v_fma_f64 v[112:113], v[41:42], s[28:29], v[36:37]
	v_fma_f64 v[36:37], v[41:42], s[22:23], v[36:37]
	v_add_f64 v[64:65], v[70:71], v[64:65]
	v_add_f64 v[20:21], v[92:93], v[20:21]
	v_fma_f64 v[70:71], v[104:105], s[40:41], v[94:95]
	v_fma_f64 v[92:93], v[41:42], s[42:43], v[106:107]
	v_fma_f64 v[94:95], v[104:105], s[40:41], -v[94:95]
	v_add_f64 v[34:35], v[34:35], v[74:75]
	v_mul_f64 v[74:75], v[102:103], s[34:35]
	v_add_f64 v[80:81], v[112:113], v[80:81]
	v_add_f64 v[24:25], v[36:37], v[24:25]
	v_mul_f64 v[36:37], v[43:44], s[36:37]
	v_add_f64 v[70:71], v[70:71], v[82:83]
	v_add_f64 v[82:83], v[92:93], v[84:85]
	v_mul_f64 v[84:85], v[43:44], s[14:15]
	v_mul_f64 v[92:93], v[102:103], s[12:13]
	v_fma_f64 v[112:113], v[41:42], s[30:31], v[74:75]
	v_add_f64 v[22:23], v[110:111], v[22:23]
	v_fma_f64 v[74:75], v[41:42], s[36:37], v[74:75]
	v_fma_f64 v[110:111], v[104:105], s[34:35], v[36:37]
	v_fma_f64 v[36:37], v[104:105], s[34:35], -v[36:37]
	v_add_f64 v[58:59], v[94:95], v[58:59]
	v_fma_f64 v[114:115], v[104:105], s[12:13], v[84:85]
	v_fma_f64 v[116:117], v[41:42], s[2:3], v[92:93]
	v_add_f64 v[94:95], v[112:113], v[96:97]
	v_add_f64 v[96:97], v[60:61], -v[26:27]
	v_add_f64 v[26:27], v[60:61], v[26:27]
	v_fma_f64 v[106:107], v[41:42], s[38:39], v[106:107]
	v_add_f64 v[36:37], v[36:37], v[86:87]
	v_add_f64 v[74:75], v[74:75], v[90:91]
	;; [unrolled: 1-line block ×4, first 2 shown]
	v_mul_f64 v[43:44], v[43:44], s[24:25]
	v_mul_f64 v[60:61], v[102:103], s[0:1]
	v_fma_f64 v[84:85], v[104:105], s[12:13], -v[84:85]
	v_fma_f64 v[92:93], v[41:42], s[14:15], v[92:93]
	v_add_f64 v[98:99], v[45:46], v[32:33]
	v_add_f64 v[32:33], v[45:46], -v[32:33]
	v_mul_f64 v[45:46], v[96:97], s[2:3]
	v_mul_f64 v[100:101], v[26:27], s[12:13]
	v_add_f64 v[72:73], v[106:107], v[72:73]
	v_fma_f64 v[102:103], v[104:105], s[0:1], v[43:44]
	v_fma_f64 v[106:107], v[41:42], s[4:5], v[60:61]
	v_fma_f64 v[43:44], v[104:105], s[0:1], -v[43:44]
	v_fma_f64 v[41:42], v[41:42], s[24:25], v[60:61]
	v_add_f64 v[39:40], v[84:85], v[39:40]
	v_add_f64 v[60:61], v[92:93], v[62:63]
	v_fma_f64 v[62:63], v[98:99], s[12:13], v[45:46]
	v_fma_f64 v[84:85], v[32:33], s[14:15], v[100:101]
	v_fma_f64 v[45:46], v[98:99], s[12:13], -v[45:46]
	v_add_f64 v[56:57], v[102:103], v[56:57]
	v_add_f64 v[16:17], v[43:44], v[16:17]
	;; [unrolled: 1-line block ×3, first 2 shown]
	v_mul_f64 v[41:42], v[96:97], s[38:39]
	v_mul_f64 v[43:44], v[26:27], s[40:41]
	v_add_f64 v[62:63], v[62:63], v[76:77]
	v_add_f64 v[76:77], v[84:85], v[78:79]
	v_fma_f64 v[78:79], v[32:33], s[2:3], v[100:101]
	v_mul_f64 v[84:85], v[96:97], s[28:29]
	v_mul_f64 v[100:101], v[26:27], s[26:27]
	v_add_f64 v[45:46], v[45:46], v[64:65]
	v_fma_f64 v[102:103], v[98:99], s[40:41], v[41:42]
	v_fma_f64 v[104:105], v[32:33], s[42:43], v[43:44]
	v_fma_f64 v[41:42], v[98:99], s[40:41], -v[41:42]
	v_fma_f64 v[43:44], v[32:33], s[38:39], v[43:44]
	v_add_f64 v[20:21], v[78:79], v[20:21]
	v_fma_f64 v[64:65], v[98:99], s[26:27], v[84:85]
	v_fma_f64 v[78:79], v[32:33], s[22:23], v[100:101]
	v_add_f64 v[92:93], v[106:107], v[108:109]
	v_add_f64 v[22:23], v[102:103], v[22:23]
	v_add_f64 v[80:81], v[104:105], v[80:81]
	v_add_f64 v[34:35], v[41:42], v[34:35]
	v_add_f64 v[24:25], v[43:44], v[24:25]
	v_mul_f64 v[41:42], v[96:97], s[24:25]
	v_mul_f64 v[43:44], v[26:27], s[0:1]
	v_add_f64 v[64:65], v[64:65], v[70:71]
	v_add_f64 v[70:71], v[78:79], v[82:83]
	v_mul_f64 v[78:79], v[96:97], s[16:17]
	v_mul_f64 v[82:83], v[26:27], s[18:19]
	v_add_f64 v[88:89], v[110:111], v[88:89]
	v_fma_f64 v[84:85], v[98:99], s[26:27], -v[84:85]
	v_fma_f64 v[102:103], v[98:99], s[0:1], v[41:42]
	v_fma_f64 v[104:105], v[32:33], s[4:5], v[43:44]
	v_fma_f64 v[41:42], v[98:99], s[0:1], -v[41:42]
	v_fma_f64 v[43:44], v[32:33], s[24:25], v[43:44]
	v_fma_f64 v[106:107], v[98:99], s[18:19], v[78:79]
	;; [unrolled: 1-line block ×4, first 2 shown]
	v_add_f64 v[58:59], v[84:85], v[58:59]
	v_add_f64 v[84:85], v[102:103], v[88:89]
	;; [unrolled: 1-line block ×6, first 2 shown]
	v_add_f64 v[86:87], v[68:69], -v[30:31]
	v_add_f64 v[30:31], v[68:69], v[30:31]
	v_add_f64 v[74:75], v[108:109], v[90:91]
	v_mul_f64 v[68:69], v[96:97], s[30:31]
	v_mul_f64 v[26:27], v[26:27], s[34:35]
	v_fma_f64 v[78:79], v[98:99], s[18:19], -v[78:79]
	v_fma_f64 v[82:83], v[32:33], s[16:17], v[82:83]
	v_add_f64 v[90:91], v[66:67], v[28:29]
	v_add_f64 v[28:29], v[66:67], -v[28:29]
	v_mul_f64 v[66:67], v[86:87], s[22:23]
	v_mul_f64 v[94:95], v[30:31], s[26:27]
	v_add_f64 v[72:73], v[100:101], v[72:73]
	v_fma_f64 v[96:97], v[98:99], s[34:35], v[68:69]
	v_fma_f64 v[100:101], v[32:33], s[36:37], v[26:27]
	v_fma_f64 v[68:69], v[98:99], s[34:35], -v[68:69]
	v_fma_f64 v[26:27], v[32:33], s[30:31], v[26:27]
	v_add_f64 v[32:33], v[78:79], v[39:40]
	v_add_f64 v[39:40], v[82:83], v[60:61]
	v_fma_f64 v[60:61], v[90:91], s[26:27], v[66:67]
	v_fma_f64 v[78:79], v[28:29], s[28:29], v[94:95]
	v_fma_f64 v[66:67], v[90:91], s[26:27], -v[66:67]
	v_add_f64 v[82:83], v[100:101], v[92:93]
	v_add_f64 v[16:17], v[68:69], v[16:17]
	;; [unrolled: 1-line block ×3, first 2 shown]
	v_mul_f64 v[26:27], v[86:87], s[36:37]
	v_mul_f64 v[68:69], v[30:31], s[34:35]
	v_add_f64 v[60:61], v[60:61], v[62:63]
	v_add_f64 v[62:63], v[78:79], v[76:77]
	v_fma_f64 v[76:77], v[28:29], s[22:23], v[94:95]
	v_mul_f64 v[78:79], v[86:87], s[24:25]
	v_mul_f64 v[92:93], v[30:31], s[0:1]
	v_add_f64 v[56:57], v[96:97], v[56:57]
	v_fma_f64 v[94:95], v[90:91], s[34:35], v[26:27]
	v_fma_f64 v[96:97], v[28:29], s[30:31], v[68:69]
	v_fma_f64 v[26:27], v[90:91], s[34:35], -v[26:27]
	v_fma_f64 v[68:69], v[28:29], s[36:37], v[68:69]
	v_add_f64 v[45:46], v[66:67], v[45:46]
	v_add_f64 v[20:21], v[76:77], v[20:21]
	v_fma_f64 v[66:67], v[90:91], s[0:1], v[78:79]
	v_fma_f64 v[76:77], v[28:29], s[4:5], v[92:93]
	v_add_f64 v[22:23], v[94:95], v[22:23]
	v_add_f64 v[80:81], v[96:97], v[80:81]
	;; [unrolled: 1-line block ×4, first 2 shown]
	v_mul_f64 v[34:35], v[86:87], s[2:3]
	v_mul_f64 v[68:69], v[30:31], s[12:13]
	v_add_f64 v[64:65], v[66:67], v[64:65]
	v_add_f64 v[66:67], v[76:77], v[70:71]
	v_fma_f64 v[70:71], v[90:91], s[0:1], -v[78:79]
	v_fma_f64 v[76:77], v[28:29], s[24:25], v[92:93]
	v_mul_f64 v[78:79], v[86:87], s[42:43]
	v_mul_f64 v[92:93], v[30:31], s[40:41]
	v_fma_f64 v[94:95], v[90:91], s[12:13], v[34:35]
	v_fma_f64 v[96:97], v[28:29], s[14:15], v[68:69]
	v_fma_f64 v[34:35], v[90:91], s[12:13], -v[34:35]
	v_fma_f64 v[68:69], v[28:29], s[2:3], v[68:69]
	v_add_f64 v[58:59], v[70:71], v[58:59]
	v_add_f64 v[70:71], v[76:77], v[72:73]
	v_fma_f64 v[72:73], v[90:91], s[40:41], v[78:79]
	v_fma_f64 v[76:77], v[28:29], s[38:39], v[92:93]
	v_mul_f64 v[30:31], v[30:31], s[18:19]
	v_add_f64 v[84:85], v[94:95], v[84:85]
	v_add_f64 v[34:35], v[34:35], v[36:37]
	;; [unrolled: 1-line block ×3, first 2 shown]
	v_mul_f64 v[41:42], v[86:87], s[20:21]
	v_add_f64 v[86:87], v[8:9], v[12:13]
	v_add_f64 v[43:44], v[72:73], v[43:44]
	v_add_f64 v[72:73], v[10:11], -v[14:15]
	v_add_f64 v[10:11], v[10:11], v[14:15]
	v_add_f64 v[68:69], v[76:77], v[74:75]
	v_fma_f64 v[14:15], v[90:91], s[40:41], -v[78:79]
	v_fma_f64 v[74:75], v[28:29], s[42:43], v[92:93]
	v_fma_f64 v[76:77], v[90:91], s[18:19], v[41:42]
	;; [unrolled: 1-line block ×3, first 2 shown]
	v_add_f64 v[8:9], v[8:9], -v[12:13]
	v_mul_f64 v[12:13], v[72:73], s[30:31]
	v_mul_f64 v[92:93], v[10:11], s[34:35]
	v_fma_f64 v[41:42], v[90:91], s[18:19], -v[41:42]
	v_fma_f64 v[28:29], v[28:29], s[20:21], v[30:31]
	v_add_f64 v[14:15], v[14:15], v[32:33]
	v_add_f64 v[30:31], v[74:75], v[39:40]
	;; [unrolled: 1-line block ×4, first 2 shown]
	v_fma_f64 v[56:57], v[86:87], s[34:35], v[12:13]
	v_fma_f64 v[74:75], v[8:9], s[36:37], v[92:93]
	v_add_f64 v[16:17], v[41:42], v[16:17]
	v_add_f64 v[18:19], v[28:29], v[18:19]
	v_mul_f64 v[28:29], v[72:73], s[14:15]
	v_mul_f64 v[41:42], v[10:11], s[12:13]
	v_fma_f64 v[12:13], v[86:87], s[34:35], -v[12:13]
	v_fma_f64 v[76:77], v[8:9], s[30:31], v[92:93]
	v_add_f64 v[56:57], v[56:57], v[60:61]
	v_add_f64 v[60:61], v[74:75], v[62:63]
	v_mul_f64 v[62:63], v[72:73], s[16:17]
	v_mul_f64 v[74:75], v[10:11], s[18:19]
	v_fma_f64 v[78:79], v[86:87], s[12:13], v[28:29]
	v_fma_f64 v[82:83], v[8:9], s[2:3], v[41:42]
	v_add_f64 v[12:13], v[12:13], v[45:46]
	v_add_f64 v[20:21], v[76:77], v[20:21]
	v_fma_f64 v[28:29], v[86:87], s[12:13], -v[28:29]
	v_fma_f64 v[41:42], v[8:9], s[14:15], v[41:42]
	v_fma_f64 v[45:46], v[86:87], s[18:19], v[62:63]
	;; [unrolled: 1-line block ×3, first 2 shown]
	v_add_f64 v[22:23], v[78:79], v[22:23]
	v_add_f64 v[78:79], v[82:83], v[80:81]
	v_mul_f64 v[80:81], v[72:73], s[42:43]
	v_mul_f64 v[82:83], v[10:11], s[40:41]
	v_add_f64 v[88:89], v[96:97], v[88:89]
	v_add_f64 v[26:27], v[28:29], v[26:27]
	v_add_f64 v[24:25], v[41:42], v[24:25]
	v_add_f64 v[28:29], v[45:46], v[64:65]
	v_add_f64 v[41:42], v[76:77], v[66:67]
	v_fma_f64 v[45:46], v[86:87], s[18:19], -v[62:63]
	v_fma_f64 v[62:63], v[8:9], s[16:17], v[74:75]
	v_fma_f64 v[64:65], v[86:87], s[40:41], v[80:81]
	v_fma_f64 v[66:67], v[8:9], s[38:39], v[82:83]
	v_mul_f64 v[74:75], v[72:73], s[24:25]
	v_mul_f64 v[76:77], v[10:11], s[0:1]
	v_fma_f64 v[80:81], v[86:87], s[40:41], -v[80:81]
	v_fma_f64 v[82:83], v[8:9], s[42:43], v[82:83]
	v_add_f64 v[45:46], v[45:46], v[58:59]
	v_add_f64 v[58:59], v[62:63], v[70:71]
	;; [unrolled: 1-line block ×4, first 2 shown]
	v_fma_f64 v[66:67], v[86:87], s[0:1], v[74:75]
	v_fma_f64 v[70:71], v[8:9], s[4:5], v[76:77]
	v_mul_f64 v[72:73], v[72:73], s[22:23]
	v_add_f64 v[34:35], v[80:81], v[34:35]
	v_add_f64 v[36:37], v[82:83], v[36:37]
	v_fma_f64 v[74:75], v[86:87], s[0:1], -v[74:75]
	v_fma_f64 v[76:77], v[8:9], s[24:25], v[76:77]
	v_mul_f64 v[10:11], v[10:11], s[26:27]
	v_add_f64 v[43:44], v[66:67], v[43:44]
	v_add_f64 v[66:67], v[70:71], v[68:69]
	v_add_f64 v[68:69], v[2:3], -v[6:7]
	v_add_f64 v[70:71], v[2:3], v[6:7]
	v_fma_f64 v[2:3], v[86:87], s[26:27], v[72:73]
	v_add_f64 v[80:81], v[0:1], v[4:5]
	v_add_f64 v[82:83], v[0:1], -v[4:5]
	v_add_f64 v[74:75], v[74:75], v[14:15]
	v_add_f64 v[76:77], v[76:77], v[30:31]
	v_fma_f64 v[6:7], v[8:9], s[28:29], v[10:11]
	v_mul_f64 v[0:1], v[68:69], s[38:39]
	v_mul_f64 v[4:5], v[70:71], s[40:41]
	v_fma_f64 v[14:15], v[86:87], s[26:27], -v[72:73]
	v_fma_f64 v[8:9], v[8:9], s[22:23], v[10:11]
	v_add_f64 v[72:73], v[2:3], v[32:33]
	v_mul_f64 v[30:31], v[68:69], s[24:25]
	v_mul_f64 v[32:33], v[70:71], s[0:1]
	v_add_f64 v[39:40], v[6:7], v[39:40]
	v_fma_f64 v[2:3], v[80:81], s[40:41], v[0:1]
	v_fma_f64 v[6:7], v[82:83], s[42:43], v[4:5]
	v_add_f64 v[84:85], v[14:15], v[16:17]
	v_add_f64 v[86:87], v[8:9], v[18:19]
	v_fma_f64 v[8:9], v[80:81], s[40:41], -v[0:1]
	v_fma_f64 v[10:11], v[82:83], s[38:39], v[4:5]
	v_fma_f64 v[14:15], v[80:81], s[0:1], v[30:31]
	;; [unrolled: 1-line block ×3, first 2 shown]
	v_add_f64 v[0:1], v[2:3], v[56:57]
	v_mul_f64 v[18:19], v[68:69], s[30:31]
	v_mul_f64 v[56:57], v[70:71], s[34:35]
	v_add_f64 v[2:3], v[6:7], v[60:61]
	v_add_f64 v[4:5], v[8:9], v[12:13]
	;; [unrolled: 1-line block ×5, first 2 shown]
	v_fma_f64 v[12:13], v[80:81], s[0:1], -v[30:31]
	v_fma_f64 v[14:15], v[82:83], s[24:25], v[32:33]
	v_fma_f64 v[16:17], v[80:81], s[34:35], v[18:19]
	;; [unrolled: 1-line block ×3, first 2 shown]
	v_mul_f64 v[30:31], v[68:69], s[20:21]
	v_mul_f64 v[32:33], v[70:71], s[18:19]
	v_fma_f64 v[22:23], v[80:81], s[34:35], -v[18:19]
	v_fma_f64 v[56:57], v[82:83], s[30:31], v[56:57]
	v_add_f64 v[12:13], v[12:13], v[26:27]
	v_add_f64 v[14:15], v[14:15], v[24:25]
	v_add_f64 v[16:17], v[16:17], v[28:29]
	v_add_f64 v[18:19], v[20:21], v[41:42]
	v_fma_f64 v[24:25], v[80:81], s[18:19], v[30:31]
	v_fma_f64 v[26:27], v[82:83], s[16:17], v[32:33]
	v_fma_f64 v[28:29], v[80:81], s[18:19], -v[30:31]
	v_fma_f64 v[30:31], v[82:83], s[20:21], v[32:33]
	v_mul_f64 v[32:33], v[68:69], s[22:23]
	v_mul_f64 v[41:42], v[70:71], s[26:27]
	v_add_f64 v[20:21], v[22:23], v[45:46]
	v_add_f64 v[22:23], v[56:57], v[58:59]
	v_mul_f64 v[45:46], v[68:69], s[14:15]
	v_mul_f64 v[56:57], v[70:71], s[12:13]
	v_add_f64 v[28:29], v[28:29], v[34:35]
	v_add_f64 v[30:31], v[30:31], v[36:37]
	v_fma_f64 v[34:35], v[80:81], s[26:27], v[32:33]
	v_fma_f64 v[36:37], v[82:83], s[28:29], v[41:42]
	v_add_f64 v[24:25], v[24:25], v[62:63]
	v_fma_f64 v[58:59], v[80:81], s[26:27], -v[32:33]
	v_fma_f64 v[60:61], v[80:81], s[12:13], v[45:46]
	v_fma_f64 v[62:63], v[82:83], s[2:3], v[56:57]
	v_fma_f64 v[45:46], v[80:81], s[12:13], -v[45:46]
	v_fma_f64 v[68:69], v[82:83], s[14:15], v[56:57]
	v_fma_f64 v[41:42], v[82:83], s[22:23], v[41:42]
	v_add_f64 v[26:27], v[26:27], v[64:65]
	v_add_f64 v[32:33], v[34:35], v[43:44]
	;; [unrolled: 1-line block ×9, first 2 shown]
	ds_write_b128 v38, v[52:55]
	ds_write_b128 v38, v[0:3] offset:2496
	ds_write_b128 v38, v[8:11] offset:4992
	;; [unrolled: 1-line block ×12, first 2 shown]
	s_waitcnt lgkmcnt(0)
	s_barrier
	ds_read_b128 v[0:3], v38
	buffer_load_dword v4, off, s[48:51], 0  ; 4-byte Folded Reload
	buffer_load_dword v5, off, s[48:51], 0 offset:4 ; 4-byte Folded Reload
	s_mul_i32 s2, s9, 0x9c0
	s_mul_hi_u32 s3, s8, 0x9c0
	s_add_i32 s2, s3, s2
	s_mul_i32 s3, s8, 0x9c0
	s_waitcnt vmcnt(1)
	v_mov_b32_e32 v14, v4
	s_waitcnt vmcnt(0)
	ds_read_b128 v[4:7], v38 offset:2496
	buffer_load_dword v18, off, s[48:51], 0 offset:156 ; 4-byte Folded Reload
	buffer_load_dword v19, off, s[48:51], 0 offset:160 ; 4-byte Folded Reload
	buffer_load_dword v20, off, s[48:51], 0 offset:164 ; 4-byte Folded Reload
	buffer_load_dword v21, off, s[48:51], 0 offset:168 ; 4-byte Folded Reload
	buffer_load_dword v17, off, s[48:51], 0 offset:8 ; 4-byte Folded Reload
	v_mad_u64_u32 v[8:9], s[0:1], s10, v14, 0
	s_waitcnt vmcnt(1) lgkmcnt(1)
	v_mul_f64 v[10:11], v[20:21], v[2:3]
	v_mul_f64 v[12:13], v[20:21], v[0:1]
	v_fma_f64 v[0:1], v[18:19], v[0:1], v[10:11]
	v_fma_f64 v[2:3], v[18:19], v[2:3], -v[12:13]
	buffer_load_dword v19, off, s[48:51], 0 offset:108 ; 4-byte Folded Reload
	buffer_load_dword v20, off, s[48:51], 0 offset:112 ; 4-byte Folded Reload
	;; [unrolled: 1-line block ×4, first 2 shown]
	v_mad_u64_u32 v[14:15], s[0:1], s11, v14, v[9:10]
	s_waitcnt vmcnt(4)
	v_mad_u64_u32 v[15:16], s[0:1], s8, v17, 0
	v_mov_b32_e32 v9, v14
	v_lshlrev_b64 v[8:9], 4, v[8:9]
	v_mov_b32_e32 v10, v16
	v_mad_u64_u32 v[10:11], s[0:1], s9, v17, v[10:11]
	s_mov_b32 s0, 0xfc7729e9
	s_mov_b32 s1, 0x3f402864
	v_mov_b32_e32 v16, v10
	v_mul_f64 v[0:1], v[0:1], s[0:1]
	v_mul_f64 v[2:3], v[2:3], s[0:1]
	v_mov_b32_e32 v14, s7
	v_add_co_u32_e32 v17, vcc, s6, v8
	v_addc_co_u32_e32 v18, vcc, v14, v9, vcc
	v_lshlrev_b64 v[8:9], 4, v[15:16]
	v_add_co_u32_e32 v14, vcc, v17, v8
	v_addc_co_u32_e32 v15, vcc, v18, v9, vcc
	global_store_dwordx4 v[14:15], v[0:3], off
	v_add_co_u32_e32 v14, vcc, s3, v14
	s_waitcnt vmcnt(1) lgkmcnt(0)
	v_mul_f64 v[10:11], v[21:22], v[6:7]
	v_mul_f64 v[12:13], v[21:22], v[4:5]
	v_fma_f64 v[10:11], v[19:20], v[4:5], v[10:11]
	v_fma_f64 v[12:13], v[19:20], v[6:7], -v[12:13]
	ds_read_b128 v[4:7], v38 offset:4992
	v_mov_b32_e32 v20, s2
	v_addc_co_u32_e32 v15, vcc, v15, v20, vcc
	v_mul_f64 v[0:1], v[10:11], s[0:1]
	ds_read_b128 v[8:11], v38 offset:7488
	buffer_load_dword v21, off, s[48:51], 0 offset:124 ; 4-byte Folded Reload
	buffer_load_dword v22, off, s[48:51], 0 offset:128 ; 4-byte Folded Reload
	buffer_load_dword v23, off, s[48:51], 0 offset:132 ; 4-byte Folded Reload
	buffer_load_dword v24, off, s[48:51], 0 offset:136 ; 4-byte Folded Reload
	v_mul_f64 v[2:3], v[12:13], s[0:1]
	s_waitcnt vmcnt(0) lgkmcnt(1)
	v_mul_f64 v[16:17], v[23:24], v[6:7]
	v_mul_f64 v[18:19], v[23:24], v[4:5]
	buffer_load_dword v23, off, s[48:51], 0 offset:28 ; 4-byte Folded Reload
	buffer_load_dword v24, off, s[48:51], 0 offset:32 ; 4-byte Folded Reload
	buffer_load_dword v25, off, s[48:51], 0 offset:36 ; 4-byte Folded Reload
	buffer_load_dword v26, off, s[48:51], 0 offset:40 ; 4-byte Folded Reload
	v_fma_f64 v[4:5], v[21:22], v[4:5], v[16:17]
	v_fma_f64 v[6:7], v[21:22], v[6:7], -v[18:19]
	global_store_dwordx4 v[14:15], v[0:3], off
	v_mov_b32_e32 v22, s2
	v_add_co_u32_e32 v14, vcc, s3, v14
	v_addc_co_u32_e32 v15, vcc, v15, v22, vcc
	v_mul_f64 v[0:1], v[4:5], s[0:1]
	v_mul_f64 v[2:3], v[6:7], s[0:1]
	ds_read_b128 v[4:7], v38 offset:9984
	s_waitcnt vmcnt(1) lgkmcnt(1)
	v_mul_f64 v[12:13], v[25:26], v[10:11]
	v_mul_f64 v[16:17], v[25:26], v[8:9]
	v_fma_f64 v[12:13], v[23:24], v[8:9], v[12:13]
	v_fma_f64 v[16:17], v[23:24], v[10:11], -v[16:17]
	ds_read_b128 v[8:11], v38 offset:12480
	buffer_load_dword v23, off, s[48:51], 0 offset:44 ; 4-byte Folded Reload
	buffer_load_dword v24, off, s[48:51], 0 offset:48 ; 4-byte Folded Reload
	buffer_load_dword v25, off, s[48:51], 0 offset:52 ; 4-byte Folded Reload
	buffer_load_dword v26, off, s[48:51], 0 offset:56 ; 4-byte Folded Reload
	s_waitcnt vmcnt(0) lgkmcnt(1)
	v_mul_f64 v[18:19], v[25:26], v[6:7]
	v_mul_f64 v[20:21], v[25:26], v[4:5]
	global_store_dwordx4 v[14:15], v[0:3], off
	v_add_co_u32_e32 v14, vcc, s3, v14
	v_mul_f64 v[0:1], v[12:13], s[0:1]
	v_mul_f64 v[2:3], v[16:17], s[0:1]
	v_addc_co_u32_e32 v15, vcc, v15, v22, vcc
	v_fma_f64 v[4:5], v[23:24], v[4:5], v[18:19]
	v_fma_f64 v[6:7], v[23:24], v[6:7], -v[20:21]
	buffer_load_dword v18, off, s[48:51], 0 offset:172 ; 4-byte Folded Reload
	buffer_load_dword v19, off, s[48:51], 0 offset:176 ; 4-byte Folded Reload
	;; [unrolled: 1-line block ×4, first 2 shown]
	s_waitcnt vmcnt(0) lgkmcnt(0)
	v_mul_f64 v[12:13], v[20:21], v[10:11]
	v_mul_f64 v[16:17], v[20:21], v[8:9]
	global_store_dwordx4 v[14:15], v[0:3], off
	v_add_co_u32_e32 v14, vcc, s3, v14
	v_mul_f64 v[0:1], v[4:5], s[0:1]
	v_mul_f64 v[2:3], v[6:7], s[0:1]
	ds_read_b128 v[4:7], v38 offset:14976
	v_fma_f64 v[12:13], v[18:19], v[8:9], v[12:13]
	v_fma_f64 v[16:17], v[18:19], v[10:11], -v[16:17]
	ds_read_b128 v[8:11], v38 offset:17472
	buffer_load_dword v23, off, s[48:51], 0 offset:60 ; 4-byte Folded Reload
	buffer_load_dword v24, off, s[48:51], 0 offset:64 ; 4-byte Folded Reload
	;; [unrolled: 1-line block ×4, first 2 shown]
	v_addc_co_u32_e32 v15, vcc, v15, v22, vcc
	global_store_dwordx4 v[14:15], v[0:3], off
	v_add_co_u32_e32 v14, vcc, s3, v14
	v_mul_f64 v[0:1], v[12:13], s[0:1]
	v_mul_f64 v[2:3], v[16:17], s[0:1]
	v_addc_co_u32_e32 v15, vcc, v15, v22, vcc
	s_waitcnt vmcnt(1) lgkmcnt(1)
	v_mul_f64 v[18:19], v[25:26], v[6:7]
	v_mul_f64 v[20:21], v[25:26], v[4:5]
	v_fma_f64 v[4:5], v[23:24], v[4:5], v[18:19]
	v_fma_f64 v[6:7], v[23:24], v[6:7], -v[20:21]
	buffer_load_dword v18, off, s[48:51], 0 offset:188 ; 4-byte Folded Reload
	buffer_load_dword v19, off, s[48:51], 0 offset:192 ; 4-byte Folded Reload
	;; [unrolled: 1-line block ×4, first 2 shown]
	s_waitcnt vmcnt(0) lgkmcnt(0)
	v_mul_f64 v[12:13], v[20:21], v[10:11]
	v_mul_f64 v[16:17], v[20:21], v[8:9]
	global_store_dwordx4 v[14:15], v[0:3], off
	v_add_co_u32_e32 v14, vcc, s3, v14
	v_mul_f64 v[0:1], v[4:5], s[0:1]
	v_mul_f64 v[2:3], v[6:7], s[0:1]
	ds_read_b128 v[4:7], v38 offset:19968
	v_fma_f64 v[12:13], v[18:19], v[8:9], v[12:13]
	v_fma_f64 v[16:17], v[18:19], v[10:11], -v[16:17]
	ds_read_b128 v[8:11], v38 offset:22464
	buffer_load_dword v23, off, s[48:51], 0 offset:76 ; 4-byte Folded Reload
	buffer_load_dword v24, off, s[48:51], 0 offset:80 ; 4-byte Folded Reload
	;; [unrolled: 1-line block ×4, first 2 shown]
	v_addc_co_u32_e32 v15, vcc, v15, v22, vcc
	global_store_dwordx4 v[14:15], v[0:3], off
	v_add_co_u32_e32 v14, vcc, s3, v14
	v_mul_f64 v[0:1], v[12:13], s[0:1]
	v_mul_f64 v[2:3], v[16:17], s[0:1]
	v_addc_co_u32_e32 v15, vcc, v15, v22, vcc
	s_waitcnt vmcnt(1) lgkmcnt(1)
	v_mul_f64 v[18:19], v[25:26], v[6:7]
	v_mul_f64 v[20:21], v[25:26], v[4:5]
	v_fma_f64 v[4:5], v[23:24], v[4:5], v[18:19]
	v_fma_f64 v[6:7], v[23:24], v[6:7], -v[20:21]
	buffer_load_dword v18, off, s[48:51], 0 offset:92 ; 4-byte Folded Reload
	buffer_load_dword v19, off, s[48:51], 0 offset:96 ; 4-byte Folded Reload
	;; [unrolled: 1-line block ×4, first 2 shown]
	s_waitcnt vmcnt(0) lgkmcnt(0)
	v_mul_f64 v[12:13], v[20:21], v[10:11]
	v_mul_f64 v[16:17], v[20:21], v[8:9]
	global_store_dwordx4 v[14:15], v[0:3], off
	v_add_co_u32_e32 v14, vcc, s3, v14
	v_mul_f64 v[0:1], v[4:5], s[0:1]
	v_mul_f64 v[2:3], v[6:7], s[0:1]
	ds_read_b128 v[4:7], v38 offset:24960
	v_fma_f64 v[12:13], v[18:19], v[8:9], v[12:13]
	v_fma_f64 v[16:17], v[18:19], v[10:11], -v[16:17]
	ds_read_b128 v[8:11], v38 offset:27456
	v_addc_co_u32_e32 v15, vcc, v15, v22, vcc
	s_waitcnt lgkmcnt(1)
	v_mul_f64 v[18:19], v[50:51], v[6:7]
	v_mul_f64 v[20:21], v[50:51], v[4:5]
	global_store_dwordx4 v[14:15], v[0:3], off
	v_add_co_u32_e32 v14, vcc, s3, v14
	v_mul_f64 v[0:1], v[12:13], s[0:1]
	v_mul_f64 v[2:3], v[16:17], s[0:1]
	v_addc_co_u32_e32 v15, vcc, v15, v22, vcc
	v_fma_f64 v[12:13], v[48:49], v[4:5], v[18:19]
	v_fma_f64 v[16:17], v[48:49], v[6:7], -v[20:21]
	ds_read_b128 v[4:7], v38 offset:29952
	buffer_load_dword v26, off, s[48:51], 0 offset:12 ; 4-byte Folded Reload
	buffer_load_dword v27, off, s[48:51], 0 offset:16 ; 4-byte Folded Reload
	;; [unrolled: 1-line block ×4, first 2 shown]
	s_waitcnt vmcnt(0) lgkmcnt(1)
	v_mul_f64 v[18:19], v[28:29], v[10:11]
	v_mul_f64 v[20:21], v[28:29], v[8:9]
	buffer_load_dword v28, off, s[48:51], 0 offset:140 ; 4-byte Folded Reload
	buffer_load_dword v29, off, s[48:51], 0 offset:144 ; 4-byte Folded Reload
	;; [unrolled: 1-line block ×4, first 2 shown]
	v_fma_f64 v[8:9], v[26:27], v[8:9], v[18:19]
	global_store_dwordx4 v[14:15], v[0:3], off
	v_fma_f64 v[10:11], v[26:27], v[10:11], -v[20:21]
	v_mul_f64 v[0:1], v[12:13], s[0:1]
	v_mul_f64 v[2:3], v[16:17], s[0:1]
	v_mov_b32_e32 v13, s2
	v_add_co_u32_e32 v12, vcc, s3, v14
	v_addc_co_u32_e32 v13, vcc, v15, v13, vcc
	global_store_dwordx4 v[12:13], v[0:3], off
	s_nop 0
	v_mul_f64 v[0:1], v[8:9], s[0:1]
	v_mul_f64 v[2:3], v[10:11], s[0:1]
	v_mov_b32_e32 v9, s2
	v_add_co_u32_e32 v8, vcc, s3, v12
	v_addc_co_u32_e32 v9, vcc, v13, v9, vcc
	global_store_dwordx4 v[8:9], v[0:3], off
	s_nop 0
	v_mov_b32_e32 v1, s2
	v_add_co_u32_e32 v0, vcc, s3, v8
	v_addc_co_u32_e32 v1, vcc, v9, v1, vcc
	s_waitcnt vmcnt(3) lgkmcnt(0)
	v_mul_f64 v[22:23], v[30:31], v[6:7]
	v_mul_f64 v[24:25], v[30:31], v[4:5]
	v_fma_f64 v[4:5], v[28:29], v[4:5], v[22:23]
	v_fma_f64 v[6:7], v[28:29], v[6:7], -v[24:25]
	v_mul_f64 v[4:5], v[4:5], s[0:1]
	v_mul_f64 v[6:7], v[6:7], s[0:1]
	global_store_dwordx4 v[0:1], v[4:7], off
.LBB0_18:
	s_endpgm
	.section	.rodata,"a",@progbits
	.p2align	6, 0x0
	.amdhsa_kernel bluestein_single_back_len2028_dim1_dp_op_CI_CI
		.amdhsa_group_segment_fixed_size 32448
		.amdhsa_private_segment_fixed_size 248
		.amdhsa_kernarg_size 104
		.amdhsa_user_sgpr_count 6
		.amdhsa_user_sgpr_private_segment_buffer 1
		.amdhsa_user_sgpr_dispatch_ptr 0
		.amdhsa_user_sgpr_queue_ptr 0
		.amdhsa_user_sgpr_kernarg_segment_ptr 1
		.amdhsa_user_sgpr_dispatch_id 0
		.amdhsa_user_sgpr_flat_scratch_init 0
		.amdhsa_user_sgpr_private_segment_size 0
		.amdhsa_uses_dynamic_stack 0
		.amdhsa_system_sgpr_private_segment_wavefront_offset 1
		.amdhsa_system_sgpr_workgroup_id_x 1
		.amdhsa_system_sgpr_workgroup_id_y 0
		.amdhsa_system_sgpr_workgroup_id_z 0
		.amdhsa_system_sgpr_workgroup_info 0
		.amdhsa_system_vgpr_workitem_id 0
		.amdhsa_next_free_vgpr 256
		.amdhsa_next_free_sgpr 52
		.amdhsa_reserve_vcc 1
		.amdhsa_reserve_flat_scratch 0
		.amdhsa_float_round_mode_32 0
		.amdhsa_float_round_mode_16_64 0
		.amdhsa_float_denorm_mode_32 3
		.amdhsa_float_denorm_mode_16_64 3
		.amdhsa_dx10_clamp 1
		.amdhsa_ieee_mode 1
		.amdhsa_fp16_overflow 0
		.amdhsa_exception_fp_ieee_invalid_op 0
		.amdhsa_exception_fp_denorm_src 0
		.amdhsa_exception_fp_ieee_div_zero 0
		.amdhsa_exception_fp_ieee_overflow 0
		.amdhsa_exception_fp_ieee_underflow 0
		.amdhsa_exception_fp_ieee_inexact 0
		.amdhsa_exception_int_div_zero 0
	.end_amdhsa_kernel
	.text
.Lfunc_end0:
	.size	bluestein_single_back_len2028_dim1_dp_op_CI_CI, .Lfunc_end0-bluestein_single_back_len2028_dim1_dp_op_CI_CI
                                        ; -- End function
	.section	.AMDGPU.csdata,"",@progbits
; Kernel info:
; codeLenInByte = 25652
; NumSgprs: 56
; NumVgprs: 256
; ScratchSize: 248
; MemoryBound: 0
; FloatMode: 240
; IeeeMode: 1
; LDSByteSize: 32448 bytes/workgroup (compile time only)
; SGPRBlocks: 6
; VGPRBlocks: 63
; NumSGPRsForWavesPerEU: 56
; NumVGPRsForWavesPerEU: 256
; Occupancy: 1
; WaveLimiterHint : 1
; COMPUTE_PGM_RSRC2:SCRATCH_EN: 1
; COMPUTE_PGM_RSRC2:USER_SGPR: 6
; COMPUTE_PGM_RSRC2:TRAP_HANDLER: 0
; COMPUTE_PGM_RSRC2:TGID_X_EN: 1
; COMPUTE_PGM_RSRC2:TGID_Y_EN: 0
; COMPUTE_PGM_RSRC2:TGID_Z_EN: 0
; COMPUTE_PGM_RSRC2:TIDIG_COMP_CNT: 0
	.type	__hip_cuid_813775e799f2497b,@object ; @__hip_cuid_813775e799f2497b
	.section	.bss,"aw",@nobits
	.globl	__hip_cuid_813775e799f2497b
__hip_cuid_813775e799f2497b:
	.byte	0                               ; 0x0
	.size	__hip_cuid_813775e799f2497b, 1

	.ident	"AMD clang version 19.0.0git (https://github.com/RadeonOpenCompute/llvm-project roc-6.4.0 25133 c7fe45cf4b819c5991fe208aaa96edf142730f1d)"
	.section	".note.GNU-stack","",@progbits
	.addrsig
	.addrsig_sym __hip_cuid_813775e799f2497b
	.amdgpu_metadata
---
amdhsa.kernels:
  - .args:
      - .actual_access:  read_only
        .address_space:  global
        .offset:         0
        .size:           8
        .value_kind:     global_buffer
      - .actual_access:  read_only
        .address_space:  global
        .offset:         8
        .size:           8
        .value_kind:     global_buffer
      - .actual_access:  read_only
        .address_space:  global
        .offset:         16
        .size:           8
        .value_kind:     global_buffer
      - .actual_access:  read_only
        .address_space:  global
        .offset:         24
        .size:           8
        .value_kind:     global_buffer
      - .actual_access:  read_only
        .address_space:  global
        .offset:         32
        .size:           8
        .value_kind:     global_buffer
      - .offset:         40
        .size:           8
        .value_kind:     by_value
      - .address_space:  global
        .offset:         48
        .size:           8
        .value_kind:     global_buffer
      - .address_space:  global
        .offset:         56
        .size:           8
        .value_kind:     global_buffer
      - .address_space:  global
        .offset:         64
        .size:           8
        .value_kind:     global_buffer
      - .address_space:  global
        .offset:         72
        .size:           8
        .value_kind:     global_buffer
      - .offset:         80
        .size:           4
        .value_kind:     by_value
      - .address_space:  global
        .offset:         88
        .size:           8
        .value_kind:     global_buffer
      - .address_space:  global
        .offset:         96
        .size:           8
        .value_kind:     global_buffer
    .group_segment_fixed_size: 32448
    .kernarg_segment_align: 8
    .kernarg_segment_size: 104
    .language:       OpenCL C
    .language_version:
      - 2
      - 0
    .max_flat_workgroup_size: 156
    .name:           bluestein_single_back_len2028_dim1_dp_op_CI_CI
    .private_segment_fixed_size: 248
    .sgpr_count:     56
    .sgpr_spill_count: 0
    .symbol:         bluestein_single_back_len2028_dim1_dp_op_CI_CI.kd
    .uniform_work_group_size: 1
    .uses_dynamic_stack: false
    .vgpr_count:     256
    .vgpr_spill_count: 61
    .wavefront_size: 64
amdhsa.target:   amdgcn-amd-amdhsa--gfx906
amdhsa.version:
  - 1
  - 2
...

	.end_amdgpu_metadata
